;; amdgpu-corpus repo=ROCm/rocFFT kind=compiled arch=gfx950 opt=O3
	.text
	.amdgcn_target "amdgcn-amd-amdhsa--gfx950"
	.amdhsa_code_object_version 6
	.protected	fft_rtc_back_len4000_factors_10_10_10_4_wgs_200_tpt_200_halfLds_sp_ip_CI_sbrr_dirReg ; -- Begin function fft_rtc_back_len4000_factors_10_10_10_4_wgs_200_tpt_200_halfLds_sp_ip_CI_sbrr_dirReg
	.globl	fft_rtc_back_len4000_factors_10_10_10_4_wgs_200_tpt_200_halfLds_sp_ip_CI_sbrr_dirReg
	.p2align	8
	.type	fft_rtc_back_len4000_factors_10_10_10_4_wgs_200_tpt_200_halfLds_sp_ip_CI_sbrr_dirReg,@function
fft_rtc_back_len4000_factors_10_10_10_4_wgs_200_tpt_200_halfLds_sp_ip_CI_sbrr_dirReg: ; @fft_rtc_back_len4000_factors_10_10_10_4_wgs_200_tpt_200_halfLds_sp_ip_CI_sbrr_dirReg
; %bb.0:
	s_load_dwordx2 s[12:13], s[0:1], 0x18
	s_load_dwordx4 s[4:7], s[0:1], 0x0
	s_load_dwordx2 s[10:11], s[0:1], 0x50
	v_mul_u32_u24_e32 v1, 0x148, v0
	v_add_u32_sdwa v6, s2, v1 dst_sel:DWORD dst_unused:UNUSED_PAD src0_sel:DWORD src1_sel:WORD_1
	s_waitcnt lgkmcnt(0)
	s_load_dwordx2 s[8:9], s[12:13], 0x0
	v_mov_b32_e32 v4, 0
	v_cmp_lt_u64_e64 s[2:3], s[6:7], 2
	v_mov_b32_e32 v7, v4
	s_and_b64 vcc, exec, s[2:3]
	v_mov_b64_e32 v[2:3], 0
	s_cbranch_vccnz .LBB0_8
; %bb.1:
	s_load_dwordx2 s[2:3], s[0:1], 0x10
	s_add_u32 s14, s12, 8
	s_addc_u32 s15, s13, 0
	s_mov_b64 s[16:17], 1
	v_mov_b64_e32 v[2:3], 0
	s_waitcnt lgkmcnt(0)
	s_add_u32 s18, s2, 8
	s_addc_u32 s19, s3, 0
.LBB0_2:                                ; =>This Inner Loop Header: Depth=1
	s_load_dwordx2 s[20:21], s[18:19], 0x0
                                        ; implicit-def: $vgpr8_vgpr9
	s_waitcnt lgkmcnt(0)
	v_or_b32_e32 v5, s21, v7
	v_cmp_ne_u64_e32 vcc, 0, v[4:5]
	s_and_saveexec_b64 s[2:3], vcc
	s_xor_b64 s[22:23], exec, s[2:3]
	s_cbranch_execz .LBB0_4
; %bb.3:                                ;   in Loop: Header=BB0_2 Depth=1
	v_cvt_f32_u32_e32 v1, s20
	v_cvt_f32_u32_e32 v5, s21
	s_sub_u32 s2, 0, s20
	s_subb_u32 s3, 0, s21
	v_fmac_f32_e32 v1, 0x4f800000, v5
	v_rcp_f32_e32 v1, v1
	s_nop 0
	v_mul_f32_e32 v1, 0x5f7ffffc, v1
	v_mul_f32_e32 v5, 0x2f800000, v1
	v_trunc_f32_e32 v5, v5
	v_fmac_f32_e32 v1, 0xcf800000, v5
	v_cvt_u32_f32_e32 v5, v5
	v_cvt_u32_f32_e32 v1, v1
	v_mul_lo_u32 v8, s2, v5
	v_mul_hi_u32 v10, s2, v1
	v_mul_lo_u32 v9, s3, v1
	v_add_u32_e32 v10, v10, v8
	v_mul_lo_u32 v12, s2, v1
	v_add_u32_e32 v13, v10, v9
	v_mul_hi_u32 v8, v1, v12
	v_mul_hi_u32 v11, v1, v13
	v_mul_lo_u32 v10, v1, v13
	v_mov_b32_e32 v9, v4
	v_lshl_add_u64 v[8:9], v[8:9], 0, v[10:11]
	v_mul_hi_u32 v11, v5, v12
	v_mul_lo_u32 v12, v5, v12
	v_add_co_u32_e32 v8, vcc, v8, v12
	v_mul_hi_u32 v10, v5, v13
	s_nop 0
	v_addc_co_u32_e32 v8, vcc, v9, v11, vcc
	v_mov_b32_e32 v9, v4
	s_nop 0
	v_addc_co_u32_e32 v11, vcc, 0, v10, vcc
	v_mul_lo_u32 v10, v5, v13
	v_lshl_add_u64 v[8:9], v[8:9], 0, v[10:11]
	v_add_co_u32_e32 v1, vcc, v1, v8
	v_mul_lo_u32 v10, s2, v1
	s_nop 0
	v_addc_co_u32_e32 v5, vcc, v5, v9, vcc
	v_mul_lo_u32 v8, s2, v5
	v_mul_hi_u32 v9, s2, v1
	v_add_u32_e32 v8, v9, v8
	v_mul_lo_u32 v9, s3, v1
	v_add_u32_e32 v12, v8, v9
	v_mul_hi_u32 v14, v5, v10
	v_mul_lo_u32 v15, v5, v10
	v_mul_hi_u32 v9, v1, v12
	v_mul_lo_u32 v8, v1, v12
	v_mul_hi_u32 v10, v1, v10
	v_mov_b32_e32 v11, v4
	v_lshl_add_u64 v[8:9], v[10:11], 0, v[8:9]
	v_add_co_u32_e32 v8, vcc, v8, v15
	v_mul_hi_u32 v13, v5, v12
	s_nop 0
	v_addc_co_u32_e32 v8, vcc, v9, v14, vcc
	v_mul_lo_u32 v10, v5, v12
	s_nop 0
	v_addc_co_u32_e32 v11, vcc, 0, v13, vcc
	v_mov_b32_e32 v9, v4
	v_lshl_add_u64 v[8:9], v[8:9], 0, v[10:11]
	v_add_co_u32_e32 v1, vcc, v1, v8
	v_mul_hi_u32 v10, v6, v1
	s_nop 0
	v_addc_co_u32_e32 v5, vcc, v5, v9, vcc
	v_mad_u64_u32 v[8:9], s[2:3], v6, v5, 0
	v_mov_b32_e32 v11, v4
	v_lshl_add_u64 v[8:9], v[10:11], 0, v[8:9]
	v_mad_u64_u32 v[12:13], s[2:3], v7, v1, 0
	v_add_co_u32_e32 v1, vcc, v8, v12
	v_mad_u64_u32 v[10:11], s[2:3], v7, v5, 0
	s_nop 0
	v_addc_co_u32_e32 v8, vcc, v9, v13, vcc
	v_mov_b32_e32 v9, v4
	s_nop 0
	v_addc_co_u32_e32 v11, vcc, 0, v11, vcc
	v_lshl_add_u64 v[8:9], v[8:9], 0, v[10:11]
	v_mul_lo_u32 v1, s21, v8
	v_mul_lo_u32 v5, s20, v9
	v_mad_u64_u32 v[10:11], s[2:3], s20, v8, 0
	v_add3_u32 v1, v11, v5, v1
	v_sub_u32_e32 v5, v7, v1
	v_mov_b32_e32 v11, s21
	v_sub_co_u32_e32 v14, vcc, v6, v10
	v_lshl_add_u64 v[12:13], v[8:9], 0, 1
	s_nop 0
	v_subb_co_u32_e64 v5, s[2:3], v5, v11, vcc
	v_subrev_co_u32_e64 v10, s[2:3], s20, v14
	v_subb_co_u32_e32 v1, vcc, v7, v1, vcc
	s_nop 0
	v_subbrev_co_u32_e64 v5, s[2:3], 0, v5, s[2:3]
	v_cmp_le_u32_e64 s[2:3], s21, v5
	v_cmp_le_u32_e32 vcc, s21, v1
	s_nop 0
	v_cndmask_b32_e64 v11, 0, -1, s[2:3]
	v_cmp_le_u32_e64 s[2:3], s20, v10
	s_nop 1
	v_cndmask_b32_e64 v10, 0, -1, s[2:3]
	v_cmp_eq_u32_e64 s[2:3], s21, v5
	s_nop 1
	v_cndmask_b32_e64 v5, v11, v10, s[2:3]
	v_lshl_add_u64 v[10:11], v[8:9], 0, 2
	v_cmp_ne_u32_e64 s[2:3], 0, v5
	s_nop 1
	v_cndmask_b32_e64 v5, v13, v11, s[2:3]
	v_cndmask_b32_e64 v11, 0, -1, vcc
	v_cmp_le_u32_e32 vcc, s20, v14
	s_nop 1
	v_cndmask_b32_e64 v13, 0, -1, vcc
	v_cmp_eq_u32_e32 vcc, s21, v1
	s_nop 1
	v_cndmask_b32_e32 v1, v11, v13, vcc
	v_cmp_ne_u32_e32 vcc, 0, v1
	v_cndmask_b32_e64 v1, v12, v10, s[2:3]
	s_nop 0
	v_cndmask_b32_e32 v9, v9, v5, vcc
	v_cndmask_b32_e32 v8, v8, v1, vcc
.LBB0_4:                                ;   in Loop: Header=BB0_2 Depth=1
	s_andn2_saveexec_b64 s[2:3], s[22:23]
	s_cbranch_execz .LBB0_6
; %bb.5:                                ;   in Loop: Header=BB0_2 Depth=1
	v_cvt_f32_u32_e32 v1, s20
	s_sub_i32 s22, 0, s20
	v_rcp_iflag_f32_e32 v1, v1
	s_nop 0
	v_mul_f32_e32 v1, 0x4f7ffffe, v1
	v_cvt_u32_f32_e32 v1, v1
	v_mul_lo_u32 v5, s22, v1
	v_mul_hi_u32 v5, v1, v5
	v_add_u32_e32 v1, v1, v5
	v_mul_hi_u32 v1, v6, v1
	v_mul_lo_u32 v5, v1, s20
	v_sub_u32_e32 v5, v6, v5
	v_add_u32_e32 v8, 1, v1
	v_subrev_u32_e32 v9, s20, v5
	v_cmp_le_u32_e32 vcc, s20, v5
	s_nop 1
	v_cndmask_b32_e32 v5, v5, v9, vcc
	v_cndmask_b32_e32 v1, v1, v8, vcc
	v_add_u32_e32 v8, 1, v1
	v_cmp_le_u32_e32 vcc, s20, v5
	v_mov_b32_e32 v9, v4
	s_nop 0
	v_cndmask_b32_e32 v8, v1, v8, vcc
.LBB0_6:                                ;   in Loop: Header=BB0_2 Depth=1
	s_or_b64 exec, exec, s[2:3]
	v_mad_u64_u32 v[10:11], s[2:3], v8, s20, 0
	s_load_dwordx2 s[2:3], s[14:15], 0x0
	v_mul_lo_u32 v1, v9, s20
	v_mul_lo_u32 v5, v8, s21
	v_add3_u32 v1, v11, v5, v1
	v_sub_co_u32_e32 v5, vcc, v6, v10
	s_add_u32 s16, s16, 1
	s_nop 0
	v_subb_co_u32_e32 v1, vcc, v7, v1, vcc
	s_addc_u32 s17, s17, 0
	s_waitcnt lgkmcnt(0)
	v_mul_lo_u32 v1, s2, v1
	v_mul_lo_u32 v6, s3, v5
	v_mad_u64_u32 v[2:3], s[2:3], s2, v5, v[2:3]
	s_add_u32 s14, s14, 8
	v_add3_u32 v3, v6, v3, v1
	s_addc_u32 s15, s15, 0
	v_mov_b64_e32 v[6:7], s[6:7]
	s_add_u32 s18, s18, 8
	v_cmp_ge_u64_e32 vcc, s[16:17], v[6:7]
	s_addc_u32 s19, s19, 0
	s_cbranch_vccnz .LBB0_9
; %bb.7:                                ;   in Loop: Header=BB0_2 Depth=1
	v_mov_b64_e32 v[6:7], v[8:9]
	s_branch .LBB0_2
.LBB0_8:
	v_mov_b64_e32 v[8:9], v[6:7]
.LBB0_9:
	s_lshl_b64 s[2:3], s[6:7], 3
	s_add_u32 s2, s12, s2
	s_addc_u32 s3, s13, s3
	s_load_dwordx2 s[6:7], s[2:3], 0x0
	s_load_dwordx2 s[12:13], s[0:1], 0x20
	s_mov_b32 s2, 0x147ae15
                                        ; implicit-def: $vgpr90
                                        ; implicit-def: $vgpr89
                                        ; implicit-def: $vgpr91
                                        ; implicit-def: $vgpr92
	s_waitcnt lgkmcnt(0)
	v_mul_lo_u32 v1, s6, v9
	v_mul_lo_u32 v4, s7, v8
	v_mad_u64_u32 v[2:3], s[0:1], s6, v8, v[2:3]
	v_add3_u32 v3, v4, v3, v1
	v_mul_hi_u32 v1, v0, s2
	v_mul_u32_u24_e32 v1, 0xc8, v1
	v_cmp_gt_u64_e32 vcc, s[12:13], v[8:9]
	v_cmp_le_u64_e64 s[0:1], s[12:13], v[8:9]
	v_sub_u32_e32 v88, v0, v1
	s_and_saveexec_b64 s[2:3], s[0:1]
	s_xor_b64 s[0:1], exec, s[2:3]
; %bb.10:
	v_add_u32_e32 v90, 0xc8, v88
	v_add_u32_e32 v89, 0x190, v88
	;; [unrolled: 1-line block ×4, first 2 shown]
; %bb.11:
	s_or_saveexec_b64 s[0:1], s[0:1]
	v_lshl_add_u64 v[32:33], v[2:3], 3, s[10:11]
                                        ; implicit-def: $vgpr44
                                        ; implicit-def: $vgpr20
                                        ; implicit-def: $vgpr36
                                        ; implicit-def: $vgpr8
                                        ; implicit-def: $vgpr10
                                        ; implicit-def: $vgpr4
                                        ; implicit-def: $vgpr2
                                        ; implicit-def: $vgpr28
                                        ; implicit-def: $vgpr56
                                        ; implicit-def: $vgpr34
                                        ; implicit-def: $vgpr22
                                        ; implicit-def: $vgpr12
                                        ; implicit-def: $vgpr16
                                        ; implicit-def: $vgpr42
                                        ; implicit-def: $vgpr40
                                        ; implicit-def: $vgpr38
                                        ; implicit-def: $vgpr0
                                        ; implicit-def: $vgpr50
                                        ; implicit-def: $vgpr18
                                        ; implicit-def: $vgpr24
                                        ; implicit-def: $vgpr30
                                        ; implicit-def: $vgpr26
                                        ; implicit-def: $vgpr6
                                        ; implicit-def: $vgpr14
	s_xor_b64 exec, exec, s[0:1]
	s_cbranch_execz .LBB0_13
; %bb.12:
	v_mad_u64_u32 v[0:1], s[2:3], s8, v88, 0
	v_mov_b32_e32 v2, v1
	v_mad_u64_u32 v[2:3], s[2:3], s9, v88, v[2:3]
	v_mov_b32_e32 v1, v2
	v_lshl_add_u64 v[0:1], v[0:1], 3, v[32:33]
	v_add_u32_e32 v89, 0x190, v88
	global_load_dwordx2 v[44:45], v[0:1], off
	v_mad_u64_u32 v[0:1], s[2:3], s8, v89, 0
	v_mov_b32_e32 v2, v1
	v_mad_u64_u32 v[2:3], s[2:3], s9, v89, v[2:3]
	v_mov_b32_e32 v1, v2
	v_add_u32_e32 v91, 0x320, v88
	v_lshl_add_u64 v[2:3], v[0:1], 3, v[32:33]
	v_mad_u64_u32 v[0:1], s[2:3], s8, v91, 0
	v_mov_b32_e32 v4, v1
	v_mad_u64_u32 v[4:5], s[2:3], s9, v91, v[4:5]
	v_mov_b32_e32 v1, v4
	v_add_u32_e32 v7, 0x4b0, v88
	v_lshl_add_u64 v[4:5], v[0:1], 3, v[32:33]
	;; [unrolled: 6-line block ×3, first 2 shown]
	v_mad_u64_u32 v[0:1], s[2:3], s8, v9, 0
	v_mov_b32_e32 v8, v1
	v_mad_u64_u32 v[8:9], s[2:3], s9, v9, v[8:9]
	v_add_u32_e32 v11, 0x7d0, v88
	v_mov_b32_e32 v1, v8
	v_mad_u64_u32 v[8:9], s[2:3], s8, v11, 0
	v_mov_b32_e32 v10, v9
	v_mad_u64_u32 v[10:11], s[2:3], s9, v11, v[10:11]
	v_add_u32_e32 v13, 0x960, v88
	v_mov_b32_e32 v9, v10
	;; [unrolled: 5-line block ×3, first 2 shown]
	v_mad_u64_u32 v[12:13], s[2:3], s8, v15, 0
	v_mov_b32_e32 v14, v13
	v_mad_u64_u32 v[14:15], s[2:3], s9, v15, v[14:15]
	v_mov_b32_e32 v13, v14
	v_add_u32_e32 v17, 0xc80, v88
	v_lshl_add_u64 v[14:15], v[12:13], 3, v[32:33]
	v_mad_u64_u32 v[12:13], s[2:3], s8, v17, 0
	v_mov_b32_e32 v16, v13
	v_mad_u64_u32 v[16:17], s[2:3], s9, v17, v[16:17]
	v_mov_b32_e32 v13, v16
	v_add_u32_e32 v17, 0xe10, v88
	v_lshl_add_u64 v[20:21], v[12:13], 3, v[32:33]
	v_mad_u64_u32 v[12:13], s[2:3], s8, v17, 0
	v_mov_b32_e32 v16, v13
	v_mad_u64_u32 v[16:17], s[2:3], s9, v17, v[16:17]
	v_lshl_add_u64 v[0:1], v[0:1], 3, v[32:33]
	v_mov_b32_e32 v13, v16
	v_add_u32_e32 v90, 0xc8, v88
	global_load_dwordx2 v[0:1], v[0:1], off
	v_lshl_add_u64 v[8:9], v[8:9], 3, v[32:33]
	v_lshl_add_u64 v[10:11], v[10:11], 3, v[32:33]
	v_lshl_add_u64 v[22:23], v[12:13], 3, v[32:33]
	global_load_dwordx2 v[40:41], v[6:7], off
	global_load_dwordx2 v[24:25], v[4:5], off
	;; [unrolled: 1-line block ×6, first 2 shown]
	v_mad_u64_u32 v[2:3], s[2:3], s8, v90, 0
	v_mov_b32_e32 v4, v3
	v_mad_u64_u32 v[4:5], s[2:3], s9, v90, v[4:5]
	v_mov_b32_e32 v3, v4
	v_add_u32_e32 v92, 0x258, v88
	v_lshl_add_u64 v[8:9], v[2:3], 3, v[32:33]
	v_mad_u64_u32 v[2:3], s[2:3], s8, v92, 0
	v_mov_b32_e32 v4, v3
	v_mad_u64_u32 v[4:5], s[2:3], s9, v92, v[4:5]
	v_mov_b32_e32 v3, v4
	v_add_u32_e32 v5, 0x3e8, v88
	v_lshl_add_u64 v[10:11], v[2:3], 3, v[32:33]
	v_mad_u64_u32 v[2:3], s[2:3], s8, v5, 0
	v_mov_b32_e32 v4, v3
	v_mad_u64_u32 v[4:5], s[2:3], s9, v5, v[4:5]
	v_mov_b32_e32 v3, v4
	v_lshl_add_u64 v[2:3], v[2:3], 3, v[32:33]
	v_add_u32_e32 v5, 0x578, v88
	global_load_dwordx2 v[14:15], v[2:3], off
	v_mad_u64_u32 v[2:3], s[2:3], s8, v5, 0
	v_mov_b32_e32 v4, v3
	v_mad_u64_u32 v[4:5], s[2:3], s9, v5, v[4:5]
	v_mov_b32_e32 v3, v4
	v_add_u32_e32 v5, 0x708, v88
	v_lshl_add_u64 v[46:47], v[2:3], 3, v[32:33]
	v_mad_u64_u32 v[2:3], s[2:3], s8, v5, 0
	v_mov_b32_e32 v4, v3
	v_mad_u64_u32 v[4:5], s[2:3], s9, v5, v[4:5]
	v_mov_b32_e32 v3, v4
	v_add_u32_e32 v5, 0x898, v88
	v_lshl_add_u64 v[48:49], v[2:3], 3, v[32:33]
	;; [unrolled: 6-line block ×3, first 2 shown]
	v_mad_u64_u32 v[2:3], s[2:3], s8, v5, 0
	v_mov_b32_e32 v4, v3
	v_mad_u64_u32 v[4:5], s[2:3], s9, v5, v[4:5]
	v_mov_b32_e32 v3, v4
	v_lshl_add_u64 v[2:3], v[2:3], 3, v[32:33]
	v_add_u32_e32 v5, 0xbb8, v88
	global_load_dwordx2 v[26:27], v[2:3], off
	v_mad_u64_u32 v[2:3], s[2:3], s8, v5, 0
	v_mov_b32_e32 v4, v3
	v_mad_u64_u32 v[4:5], s[2:3], s9, v5, v[4:5]
	v_mov_b32_e32 v3, v4
	v_add_u32_e32 v5, 0xd48, v88
	v_lshl_add_u64 v[54:55], v[2:3], 3, v[32:33]
	v_mad_u64_u32 v[2:3], s[2:3], s8, v5, 0
	v_mov_b32_e32 v4, v3
	v_mad_u64_u32 v[4:5], s[2:3], s9, v5, v[4:5]
	v_mov_b32_e32 v3, v4
	v_add_u32_e32 v5, 0xed8, v88
	v_lshl_add_u64 v[58:59], v[2:3], 3, v[32:33]
	v_mad_u64_u32 v[2:3], s[2:3], s8, v5, 0
	v_mov_b32_e32 v4, v3
	v_mad_u64_u32 v[4:5], s[2:3], s9, v5, v[4:5]
	v_mov_b32_e32 v3, v4
	v_lshl_add_u64 v[60:61], v[2:3], 3, v[32:33]
	global_load_dwordx2 v[18:19], v[20:21], off
	global_load_dwordx2 v[16:17], v[22:23], off
	;; [unrolled: 1-line block ×10, first 2 shown]
	s_waitcnt vmcnt(16)
	v_mov_b32_e32 v20, v25
	v_mov_b32_e32 v22, v45
	;; [unrolled: 1-line block ×3, first 2 shown]
	s_waitcnt vmcnt(11)
	v_mov_b32_e32 v8, v15
	v_mov_b32_e32 v11, v14
	s_waitcnt vmcnt(9)
	v_mov_b32_e32 v24, v19
	s_waitcnt vmcnt(7)
	;; [unrolled: 2-line block ×3, first 2 shown]
	v_mov_b32_e32 v14, v7
.LBB0_13:
	s_or_b64 exec, exec, s[0:1]
	s_mov_b32 s0, 0x3f737871
	v_mov_b32_e32 v21, v1
	v_mov_b32_e32 v25, v51
	s_mov_b32 s1, 0x3f167918
	v_pk_add_f32 v[48:49], v[0:1], v[50:51]
	v_add_f32_e32 v7, v23, v18
	s_mov_b32 s2, s1
	s_mov_b32 s3, s0
	v_pk_add_f32 v[82:83], v[20:21], v[24:25] neg_lo:[0,1] neg_hi:[0,1]
	v_add_f32_e32 v74, v44, v23
	v_fma_f32 v72, -0.5, v48, v44
	v_fmac_f32_e32 v44, -0.5, v7
	v_pk_mul_f32 v[46:47], v[82:83], s[2:3]
	v_mov_b32_e32 v45, v50
	v_add_f32_e32 v7, v47, v44
	v_sub_f32_e32 v9, v44, v47
	v_sub_f32_e32 v66, v7, v46
	v_add_f32_e32 v67, v46, v9
	v_mov_b32_e32 v44, v0
	v_mov_b32_e32 v46, v23
	v_mov_b32_e32 v47, v18
	v_mov_b32_e32 v21, v24
	v_mov_b32_e32 v54, v1
	v_mov_b32_e32 v55, v51
	v_pk_add_f32 v[70:71], v[44:45], v[46:47] neg_lo:[0,1] neg_hi:[0,1]
	v_pk_add_f32 v[44:45], v[20:21], v[54:55] neg_lo:[0,1] neg_hi:[0,1]
	v_mov_b32_e32 v47, v50
	v_mov_b32_e32 v46, v45
	;; [unrolled: 1-line block ×3, first 2 shown]
	v_pk_add_f32 v[68:69], v[44:45], v[46:47]
	v_pk_add_f32 v[52:53], v[6:7], v[46:47] neg_lo:[0,1] neg_hi:[0,1]
	v_pk_add_f32 v[44:45], v[40:41], v[42:43] neg_lo:[0,1] neg_hi:[0,1]
	;; [unrolled: 1-line block ×4, first 2 shown]
	v_pk_add_f32 v[80:81], v[46:47], v[44:45]
	v_pk_add_f32 v[44:45], v[42:43], v[12:13]
	v_pk_mul_f32 v[46:47], v[76:77], s[0:1] op_sel_hi:[1,0]
	v_pk_fma_f32 v[44:45], v[44:45], 0.5, v[38:39] op_sel_hi:[1,0,1] neg_lo:[1,0,0] neg_hi:[1,0,0]
	v_mov_b32_e32 v9, v31
	v_mov_b32_e32 v15, v27
	v_pk_add_f32 v[60:61], v[44:45], v[46:47] op_sel:[0,1] op_sel_hi:[1,0] neg_lo:[0,1] neg_hi:[0,1]
	v_pk_add_f32 v[94:95], v[44:45], v[46:47] op_sel:[0,1] op_sel_hi:[1,0]
	v_pk_add_f32 v[62:63], v[8:9], v[14:15] neg_lo:[0,1] neg_hi:[0,1]
	v_mov_b32_e32 v9, v14
	v_mov_b32_e32 v44, v31
	;; [unrolled: 1-line block ×3, first 2 shown]
	v_pk_add_f32 v[46:47], v[8:9], v[44:45] neg_lo:[0,1] neg_hi:[0,1]
	v_mov_b32_e32 v59, v26
	v_mov_b32_e32 v58, v47
	;; [unrolled: 1-line block ×3, first 2 shown]
	v_pk_add_f32 v[84:85], v[46:47], v[58:59]
	v_pk_add_f32 v[46:47], v[6:7], v[58:59] neg_lo:[0,1] neg_hi:[0,1]
	v_pk_add_f32 v[64:65], v[56:57], v[34:35]
	v_pk_add_f32 v[58:59], v[56:57], v[2:3] neg_lo:[0,1] neg_hi:[0,1]
	v_mov_b32_e32 v37, v56
	v_pk_add_f32 v[78:79], v[56:57], v[2:3]
	v_pk_add_f32 v[96:97], v[28:29], v[56:57] neg_lo:[0,1] neg_hi:[0,1]
	v_mov_b32_e32 v56, v3
	s_waitcnt vmcnt(0)
	v_mov_b32_e32 v86, v5
	v_mov_b32_e32 v87, v29
	v_pk_add_f32 v[56:57], v[56:57], v[86:87] neg_lo:[0,1] neg_hi:[0,1]
	v_pk_add_f32 v[98:99], v[28:29], v[4:5] neg_lo:[0,1] neg_hi:[0,1]
	v_mov_b32_e32 v46, v57
	v_pk_add_f32 v[86:87], v[56:57], v[46:47]
	v_pk_add_f32 v[56:57], v[4:5], v[2:3] neg_lo:[0,1] neg_hi:[0,1]
	s_mov_b32 s6, s1
	v_pk_add_f32 v[96:97], v[56:57], v[96:97]
	v_pk_fma_f32 v[56:57], v[78:79], 0.5, v[34:35] op_sel_hi:[1,0,1] neg_lo:[1,0,0] neg_hi:[1,0,0]
	v_pk_mul_f32 v[78:79], v[98:99], s[0:1] op_sel_hi:[1,0]
	s_mov_b32 s10, 0x3e9e377a
	v_pk_add_f32 v[100:101], v[56:57], v[78:79] op_sel:[0,1] op_sel_hi:[1,0] neg_lo:[0,1] neg_hi:[0,1]
	v_pk_add_f32 v[56:57], v[78:79], v[56:57] op_sel:[1,0] op_sel_hi:[0,1]
	v_pk_mul_f32 v[78:79], v[58:59], s[6:7] op_sel_hi:[1,0]
	s_mov_b32 s11, s1
	v_pk_add_f32 v[100:101], v[78:79], v[100:101] op_sel:[1,0] op_sel_hi:[0,1]
	v_pk_add_f32 v[78:79], v[56:57], v[78:79] op_sel:[0,1] op_sel_hi:[1,0] neg_lo:[0,1] neg_hi:[0,1]
	v_pk_fma_f32 v[56:57], v[96:97], s[10:11], v[100:101] op_sel_hi:[1,0,1]
	v_pk_fma_f32 v[78:79], v[96:97], s[10:11], v[78:79] op_sel_hi:[1,0,1]
	v_pk_add_f32 v[96:97], v[42:43], v[12:13] neg_lo:[0,1] neg_hi:[0,1]
	v_pk_mul_f32 v[82:83], v[82:83], s[0:1]
	v_pk_mul_f32 v[100:101], v[96:97], s[6:7] op_sel_hi:[1,0]
	v_sub_f32_e32 v7, v72, v82
	v_pk_add_f32 v[102:103], v[60:61], v[100:101] op_sel:[0,1] op_sel_hi:[1,0] neg_lo:[0,1] neg_hi:[0,1]
	v_pk_add_f32 v[60:61], v[94:95], v[100:101] op_sel:[0,1] op_sel_hi:[1,0]
	v_mov_b32_e32 v101, v100
	v_mov_b32_e32 v61, v103
	;; [unrolled: 1-line block ×4, first 2 shown]
	v_pk_fma_f32 v[60:61], v[80:81], s[10:11], v[60:61] op_sel_hi:[1,0,1]
	v_pk_mul_f32 v[80:81], v[80:81], s[10:11] op_sel_hi:[1,0]
	v_pk_add_f32 v[94:95], v[100:101], v[94:95]
	v_add_f32_e32 v15, v80, v102
	v_mov_b32_e32 v80, v43
	v_sub_f32_e32 v19, v7, v83
	v_pk_add_f32 v[80:81], v[80:81], v[94:95]
	v_pk_add_f32 v[94:95], v[18:19], v[50:51] neg_lo:[0,1] neg_hi:[0,1]
	v_mov_b32_e32 v101, v34
	v_mov_b32_e32 v75, v94
	v_pk_add_f32 v[94:95], v[22:23], v[0:1] op_sel_hi:[1,0] neg_lo:[0,1] neg_hi:[0,1]
	v_mov_b32_e32 v87, v98
	v_mov_b32_e32 v94, v0
	v_pk_add_f32 v[74:75], v[74:75], v[94:95]
	v_pk_add_f32 v[94:95], v[4:5], v[28:29]
	v_mov_b32_e32 v98, v59
	v_fmac_f32_e32 v101, -0.5, v94
	v_pk_mul_f32 v[102:103], v[98:99], s[0:1]
	v_mov_b32_e32 v0, v51
	v_sub_f32_e32 v25, v101, v102
	v_mov_b32_e32 v105, v102
	v_mov_b32_e32 v102, 0x3e9e377a
	;; [unrolled: 1-line block ×3, first 2 shown]
	v_pk_add_f32 v[106:107], v[74:75], v[50:51]
	v_pk_mul_f32 v[50:51], v[74:75], v[50:51]
	v_pk_add_f32 v[74:75], v[38:39], v[40:41]
	v_mov_b32_e32 v73, v42
	v_mov_b32_e32 v75, v74
	;; [unrolled: 1-line block ×3, first 2 shown]
	v_pk_add_f32 v[42:43], v[42:43], v[40:41] neg_lo:[0,1] neg_hi:[0,1]
	v_pk_add_f32 v[40:41], v[16:17], v[40:41]
	v_pk_add_f32 v[72:73], v[72:73], v[74:75]
	v_mov_b32_e32 v74, v83
	v_mov_b32_e32 v75, v12
	v_pk_fma_f32 v[38:39], v[40:41], 0.5, v[38:39] op_sel_hi:[1,0,1] neg_lo:[1,0,0] neg_hi:[1,0,0]
	v_pk_add_f32 v[40:41], v[12:13], v[16:17] neg_lo:[0,1] neg_hi:[0,1]
	v_pk_add_f32 v[72:73], v[74:75], v[72:73]
	v_mov_b32_e32 v107, v51
	v_mov_b32_e32 v50, v51
	;; [unrolled: 1-line block ×3, first 2 shown]
	v_pk_add_f32 v[40:41], v[40:41], v[42:43]
	v_pk_mul_f32 v[42:43], v[96:97], s[0:1] op_sel_hi:[1,0]
	v_pk_add_f32 v[72:73], v[50:51], v[72:73]
	v_pk_add_f32 v[50:51], v[38:39], v[42:43] op_sel:[0,1] op_sel_hi:[1,0] neg_lo:[0,1] neg_hi:[0,1]
	v_pk_add_f32 v[38:39], v[42:43], v[38:39] op_sel:[1,0] op_sel_hi:[0,1]
	v_pk_mul_f32 v[42:43], v[76:77], s[6:7] op_sel_hi:[1,0]
	s_mov_b32 s6, s0
	v_pk_add_f32 v[50:51], v[42:43], v[50:51] op_sel:[1,0] op_sel_hi:[0,1]
	v_pk_add_f32 v[38:39], v[38:39], v[42:43] op_sel:[0,1] op_sel_hi:[1,0] neg_lo:[0,1] neg_hi:[0,1]
	v_pk_fma_f32 v[74:75], v[40:41], s[10:11], v[50:51] op_sel_hi:[1,0,1]
	v_pk_fma_f32 v[42:43], v[40:41], s[10:11], v[38:39] op_sel_hi:[1,0,1]
	s_mov_b32 s7, s10
	v_add_f32_e32 v7, v70, v71
	v_mov_b32_e32 v69, v53
	v_mov_b32_e32 v85, v47
	;; [unrolled: 1-line block ×3, first 2 shown]
	v_pk_mul_f32 v[70:71], v[42:43], s[6:7]
	v_mov_b32_e32 v42, v75
	v_pk_mul_f32 v[40:41], v[68:69], s[10:11]
	v_pk_mul_f32 v[38:39], v[84:85], s[10:11]
	;; [unrolled: 1-line block ×3, first 2 shown]
	v_mov_b32_e32 v51, v74
	s_mov_b32 s11, 0xbe9e377a
	v_pk_mul_f32 v[42:43], v[42:43], s[0:1] op_sel_hi:[1,0]
	v_mul_f32_e32 v12, 0x3e9e377a, v7
	v_pk_fma_f32 v[76:77], v[50:51], s[10:11], v[42:43] neg_lo:[0,0,1] neg_hi:[0,0,1]
	v_mul_f32_e32 v43, 0xbf167918, v81
	v_pk_add_f32 v[66:67], v[12:13], v[66:67] op_sel_hi:[0,1]
	v_fmac_f32_e32 v43, 0x3f4f1bbd, v15
	v_pk_add_f32 v[50:51], v[106:107], v[18:19]
	v_mov_b32_e32 v42, v73
	v_mad_u32_u24 v93, v88, 40, 0
	v_pk_add_f32 v[82:83], v[50:51], v[42:43]
	v_pk_add_f32 v[84:85], v[66:67], v[76:77]
	ds_write2_b64 v93, v[82:83], v[84:85] offset1:1
	v_mov_b32_e32 v82, v51
	v_mov_b32_e32 v83, v66
	;; [unrolled: 1-line block ×4, first 2 shown]
	s_mov_b32 s12, 0xbf4f1bbd
	s_mov_b32 s13, s1
	v_pk_add_f32 v[42:43], v[82:83], v[42:43] neg_lo:[0,1] neg_hi:[0,1]
	v_pk_mul_f32 v[82:83], v[60:61], s[12:13]
	v_mov_b32_e32 v7, v50
	v_mov_b32_e32 v12, v83
	v_pk_fma_f32 v[82:83], v[60:61], s[12:13], v[12:13] neg_lo:[0,0,1] neg_hi:[0,0,1]
	v_pk_add_f32 v[50:51], v[6:7], v[72:73] neg_lo:[0,1] neg_hi:[0,1]
	v_pk_add_f32 v[84:85], v[82:83], v[72:73]
	v_add_f32_e32 v7, v11, v6
	v_mov_b32_e32 v85, v51
	ds_write2_b64 v93, v[84:85], v[42:43] offset0:2 offset1:3
	v_pk_add_f32 v[42:43], v[30:31], v[26:27]
	v_add_f32_e32 v66, v36, v11
	v_fma_f32 v76, -0.5, v42, v36
	v_fmac_f32_e32 v36, -0.5, v7
	v_pk_mul_f32 v[50:51], v[62:63], s[2:3]
	v_mov_b32_e32 v86, v11
	v_add_f32_e32 v7, v51, v36
	v_sub_f32_e32 v12, v36, v51
	v_sub_f32_e32 v84, v7, v50
	v_add_f32_e32 v85, v50, v12
	v_mov_b32_e32 v50, v30
	v_mov_b32_e32 v51, v26
	;; [unrolled: 1-line block ×3, first 2 shown]
	v_pk_add_f32 v[86:87], v[50:51], v[86:87] neg_lo:[0,1] neg_hi:[0,1]
	v_mov_b32_e32 v36, v2
	v_mov_b32_e32 v50, v4
	;; [unrolled: 1-line block ×3, first 2 shown]
	v_pk_add_f32 v[36:37], v[36:37], v[50:51] neg_lo:[0,1] neg_hi:[0,1]
	v_mov_b32_e32 v16, v35
	v_mov_b32_e32 v104, v36
	;; [unrolled: 1-line block ×3, first 2 shown]
	v_pk_add_f32 v[50:51], v[104:105], v[100:101]
	v_pk_mul_f32 v[62:63], v[62:63], s[0:1]
	v_pk_fma_f32 v[34:35], v[98:99], s[0:1], v[50:51]
	v_mov_b32_e32 v73, v82
	v_mov_b32_e32 v12, v35
	v_pk_mul_f32 v[34:35], v[102:103], v[50:51]
	v_pk_fma_f32 v[36:37], v[102:103], v[50:51], v[12:13]
	v_mov_b32_e32 v35, v34
	v_mov_b32_e32 v34, v29
	v_sub_f32_e32 v51, v25, v103
	v_mov_b32_e32 v50, v65
	v_pk_add_f32 v[50:51], v[34:35], v[50:51]
	v_mov_b32_e32 v34, v67
	v_mov_b32_e32 v35, v72
	;; [unrolled: 1-line block ×3, first 2 shown]
	v_sub_f32_e32 v7, v76, v62
	v_pk_add_f32 v[34:35], v[34:35], v[72:73] neg_lo:[0,1] neg_hi:[0,1]
	v_sub_f32_e32 v7, v7, v63
	ds_write_b64 v93, v[34:35] offset:32
	v_pk_add_f32 v[34:35], v[6:7], v[26:27] neg_lo:[0,1] neg_hi:[0,1]
	v_mov_b32_e32 v77, v28
	v_mov_b32_e32 v67, v34
	v_pk_add_f32 v[34:35], v[10:11], v[30:31] op_sel_hi:[1,0] neg_lo:[0,1] neg_hi:[0,1]
	v_mov_b32_e32 v29, v64
	v_mov_b32_e32 v34, v31
	;; [unrolled: 1-line block ×3, first 2 shown]
	v_pk_add_f32 v[66:67], v[66:67], v[30:31]
	v_mov_b32_e32 v30, v27
	v_mov_b32_e32 v27, v102
	v_pk_add_f32 v[72:73], v[66:67], v[26:27]
	v_pk_mul_f32 v[26:27], v[66:67], v[26:27]
	v_mov_b32_e32 v28, v62
	v_pk_add_f32 v[28:29], v[76:77], v[28:29]
	v_mov_b32_e32 v62, v63
	v_mov_b32_e32 v63, v4
	;; [unrolled: 1-line block ×5, first 2 shown]
	v_add_f32_e32 v2, v86, v87
	v_fmac_f32_e32 v16, -0.5, v95
	v_pk_add_f32 v[28:29], v[62:63], v[28:29]
	v_mul_f32_e32 v2, 0x3e9e377a, v2
	v_pk_add_f32 v[26:27], v[26:27], v[28:29]
	v_pk_add_f32 v[28:29], v[2:3], v[84:85] op_sel_hi:[0,1]
	v_fmamk_f32 v2, v58, 0x3f737871, v16
	v_mov_b32_e32 v62, v78
	v_pk_mul_f32 v[76:77], v[78:79], s[6:7]
	v_mov_b32_e32 v78, v57
	v_add_f32_e32 v2, v69, v2
	v_mov_b32_e32 v63, v56
	v_pk_mul_f32 v[64:65], v[78:79], s[0:1] op_sel_hi:[1,0]
	v_add_f32_e32 v31, v68, v2
	v_fmac_f32_e32 v16, 0xbf737871, v58
	v_pk_fma_f32 v[62:63], v[62:63], s[10:11], v[64:65] neg_lo:[0,0,1] neg_hi:[0,0,1]
	v_mul_f32_e32 v65, 0xbf167918, v31
	v_sub_f32_e32 v2, v16, v69
	v_fmac_f32_e32 v65, 0x3f4f1bbd, v51
	v_pk_add_f32 v[66:67], v[72:73], v[6:7]
	v_mov_b32_e32 v64, v27
	v_add_f32_e32 v4, v68, v2
	v_pk_add_f32 v[72:73], v[66:67], v[64:65]
	v_mov_b32_e32 v68, v67
	v_mov_b32_e32 v67, v66
	v_mul_f32_e32 v66, 0xbf167918, v4
	v_mad_i32_i24 v59, v90, 40, 0
	v_pk_add_f32 v[78:79], v[28:29], v[62:63]
	v_mov_b32_e32 v64, v65
	v_mov_b32_e32 v65, v62
	;; [unrolled: 1-line block ×3, first 2 shown]
	v_fmac_f32_e32 v66, 0xbf4f1bbd, v36
	ds_write2_b64 v59, v[72:73], v[78:79] offset1:1
	v_pk_add_f32 v[64:65], v[68:69], v[64:65] neg_lo:[0,1] neg_hi:[0,1]
	v_pk_add_f32 v[68:69], v[66:67], v[26:27]
	v_pk_add_f32 v[72:73], v[66:67], v[26:27] neg_lo:[0,1] neg_hi:[0,1]
	s_mov_b32 s3, 0x3f4f1bbd
	v_mov_b32_e32 v69, v73
	v_mov_b32_e32 v12, v13
	;; [unrolled: 1-line block ×3, first 2 shown]
	ds_write2_b64 v59, v[68:69], v[64:65] offset0:2 offset1:3
	v_pk_add_f32 v[12:13], v[12:13], v[80:81]
	v_pk_mul_f32 v[64:65], v[80:81], s[2:3]
	v_mov_b32_e32 v16, v17
	v_mov_b32_e32 v13, v65
	v_mul_f32_e32 v17, 0x3f167918, v15
	v_add_f32_e32 v7, v20, v24
	v_pk_add_f32 v[72:73], v[16:17], v[12:13]
	v_mov_b32_e32 v13, v18
	v_mul_f32_e32 v12, 0.5, v7
	v_mul_f32_e32 v2, 0.5, v49
	v_pk_add_f32 v[78:79], v[22:23], v[12:13] neg_lo:[0,1] neg_hi:[0,1]
	v_pk_add_f32 v[16:17], v[54:55], v[20:21] neg_lo:[0,1] neg_hi:[0,1]
	v_mov_b32_e32 v21, v2
	v_pk_mul_f32 v[12:13], v[78:79], s[0:1]
	v_pk_add_f32 v[18:19], v[22:23], v[20:21]
	v_pk_add_f32 v[48:49], v[22:23], v[20:21] op_sel_hi:[0,1] neg_lo:[0,1] neg_hi:[0,1]
	v_mov_b32_e32 v12, v13
	v_fmamk_f32 v13, v53, 0xbf737871, v78
	v_mul_f32_e32 v20, 0x3f737871, v53
	v_mov_b32_e32 v53, 0x3f167918
	v_mov_b32_e32 v21, v53
	v_pk_add_f32 v[22:23], v[78:79], v[20:21]
	v_pk_fma_f32 v[20:21], v[78:79], v[20:21], v[12:13]
	v_pk_add_f32 v[12:13], v[22:23], v[12:13] neg_lo:[0,1] neg_hi:[0,1]
	v_add_f32_e32 v2, v16, v17
	v_mov_b32_e32 v13, v21
	v_mul_f32_e32 v2, 0x3e9e377a, v2
	v_pk_add_f32 v[80:81], v[2:3], v[12:13] op_sel_hi:[0,1]
	v_mov_b32_e32 v19, v49
	v_mov_b32_e32 v12, v1
	v_mul_f32_e32 v13, 0x3f737871, v79
	v_pk_add_f32 v[12:13], v[18:19], v[12:13]
	v_mov_b32_e32 v1, v41
	v_pk_fma_f32 v[82:83], v[74:75], s[6:7], v[70:71] op_sel:[0,0,1] op_sel_hi:[1,1,0]
	v_pk_fma_f32 v[70:71], v[74:75], s[6:7], v[70:71] op_sel:[0,0,1] op_sel_hi:[1,1,0] neg_lo:[0,0,1] neg_hi:[0,0,1]
	v_pk_add_f32 v[0:1], v[12:13], v[0:1]
	v_mov_b32_e32 v12, v29
	v_mov_b32_e32 v13, v26
	;; [unrolled: 1-line block ×5, first 2 shown]
	v_pk_add_f32 v[12:13], v[12:13], v[16:17] neg_lo:[0,1] neg_hi:[0,1]
	v_mov_b32_e32 v71, v83
	v_pk_add_f32 v[0:1], v[0:1], v[24:25]
	ds_write_b64 v59, v[12:13] offset:32
	v_pk_add_f32 v[12:13], v[80:81], v[70:71]
	s_movk_i32 s2, 0xffdc
	v_mov_b32_e32 v74, v13
	v_mov_b32_e32 v75, v12
	v_mad_i32_i24 v54, v88, s2, v93
	v_mad_i32_i24 v69, v90, s2, v59
	v_pk_add_f32 v[84:85], v[0:1], v[72:73]
	v_fmac_f32_e32 v49, 0xbf737871, v79
	s_waitcnt lgkmcnt(0)
	s_barrier
	v_lshl_add_u32 v62, v89, 2, 0
	v_lshl_add_u32 v63, v91, 2, 0
	v_add_u32_e32 v55, 0xf00, v54
	v_add_u32_e32 v65, 0x1580, v54
	;; [unrolled: 1-line block ×7, first 2 shown]
	ds_read_b32 v28, v69
	ds_read_b32 v29, v54
	ds_read_b32 v78, v54 offset:2400
	ds_read_b32 v86, v63
	ds_read_b32 v87, v62
	ds_read_b32 v37, v54 offset:15200
	ds_read2_b32 v[26:27], v55 offset0:40 offset1:240
	ds_read2_b32 v[24:25], v65 offset0:24 offset1:224
	ds_read2_b32 v[22:23], v67 offset0:8 offset1:208
	ds_read2_b32 v[20:21], v64 offset0:24 offset1:224
	ds_read2_b32 v[18:19], v68 offset0:40 offset1:240
	ds_read2_b32 v[16:17], v58 offset0:24 offset1:224
	ds_read2_b32 v[12:13], v66 offset0:8 offset1:208
	s_waitcnt lgkmcnt(0)
	s_barrier
	ds_write2_b64 v93, v[84:85], v[74:75] offset1:1
	v_mul_f32_e32 v74, 0xbf4f1bbd, v61
	v_sub_f32_e32 v2, v49, v41
	v_fmac_f32_e32 v74, 0x3f167918, v60
	v_mov_b32_e32 v75, v72
	v_add_f32_e32 v40, v40, v2
	v_mov_b32_e32 v41, v0
	v_mov_b32_e32 v82, v73
	;; [unrolled: 1-line block ×4, first 2 shown]
	v_pk_add_f32 v[48:49], v[40:41], v[74:75]
	v_pk_add_f32 v[60:61], v[40:41], v[74:75] neg_lo:[0,1] neg_hi:[0,1]
	v_pk_add_f32 v[0:1], v[0:1], v[82:83] neg_lo:[0,1] neg_hi:[0,1]
	v_mov_b32_e32 v49, v61
	v_mov_b32_e32 v52, v5
	ds_write2_b64 v93, v[48:49], v[0:1] offset0:2 offset1:3
	v_mul_f32_e32 v0, 0xbf4f1bbd, v4
	v_pk_add_f32 v[4:5], v[52:53], v[50:51]
	v_pk_mul_f32 v[48:49], v[50:51], s[0:1]
	v_mov_b32_e32 v2, v3
	v_mov_b32_e32 v5, v49
	v_mul_f32_e32 v3, 0x3f4f1bbd, v31
	v_pk_add_f32 v[2:3], v[2:3], v[4:5]
	v_add_f32_e32 v4, v8, v14
	v_mov_b32_e32 v5, v6
	v_mul_f32_e32 v4, 0.5, v4
	v_mul_f32_e32 v1, 0.5, v43
	v_pk_add_f32 v[4:5], v[10:11], v[4:5] neg_lo:[0,1] neg_hi:[0,1]
	v_pk_add_f32 v[6:7], v[44:45], v[8:9] neg_lo:[0,1] neg_hi:[0,1]
	v_mov_b32_e32 v9, v1
	v_mul_f32_e32 v52, 0x3f737871, v47
	v_pk_mul_f32 v[44:45], v[4:5], s[0:1]
	v_pk_add_f32 v[42:43], v[10:11], v[8:9]
	v_pk_add_f32 v[8:9], v[10:11], v[8:9] op_sel_hi:[0,1] neg_lo:[0,1] neg_hi:[0,1]
	v_fmamk_f32 v11, v47, 0xbf737871, v4
	v_mov_b32_e32 v10, v45
	v_pk_add_f32 v[44:45], v[4:5], v[52:53]
	v_pk_fma_f32 v[46:47], v[4:5], v[52:53], v[10:11]
	v_pk_add_f32 v[10:11], v[44:45], v[10:11] neg_lo:[0,1] neg_hi:[0,1]
	v_add_f32_e32 v1, v6, v7
	v_mov_b32_e32 v11, v47
	v_mul_f32_e32 v4, 0x3e9e377a, v1
	v_mov_b32_e32 v43, v9
	v_mul_f32_e32 v35, 0x3f737871, v5
	v_pk_add_f32 v[6:7], v[4:5], v[10:11] op_sel_hi:[0,1]
	v_pk_fma_f32 v[10:11], v[56:57], s[6:7], v[76:77] op_sel:[0,0,1] op_sel_hi:[1,1,0]
	v_pk_fma_f32 v[44:45], v[56:57], s[6:7], v[76:77] op_sel:[0,0,1] op_sel_hi:[1,1,0] neg_lo:[0,0,1] neg_hi:[0,0,1]
	v_pk_add_f32 v[34:35], v[42:43], v[34:35]
	v_mov_b32_e32 v31, v39
	v_fmac_f32_e32 v9, 0xbf737871, v5
	v_pk_add_f32 v[30:31], v[34:35], v[30:31]
	v_mov_b32_e32 v15, v38
	v_sub_f32_e32 v1, v9, v39
	v_mov_b32_e32 v45, v11
	v_mov_b32_e32 v81, v40
	;; [unrolled: 1-line block ×3, first 2 shown]
	v_fmac_f32_e32 v0, 0x3f167918, v36
	v_pk_add_f32 v[14:15], v[30:31], v[14:15]
	v_add_f32_e32 v4, v38, v1
	v_pk_add_f32 v[8:9], v[6:7], v[44:45]
	v_pk_add_f32 v[34:35], v[80:81], v[70:71] neg_lo:[0,1] neg_hi:[0,1]
	v_pk_add_f32 v[30:31], v[14:15], v[2:3]
	ds_write_b64 v93, v[34:35] offset:32
	v_mov_b32_e32 v34, v9
	v_mov_b32_e32 v35, v8
	v_mov_b32_e32 v5, v14
	v_mov_b32_e32 v1, v2
	v_mov_b32_e32 v14, v15
	v_mov_b32_e32 v15, v7
	v_mov_b32_e32 v7, v4
	v_mov_b32_e32 v45, v0
	ds_write2_b64 v59, v[30:31], v[34:35] offset1:1
	v_pk_add_f32 v[8:9], v[4:5], v[0:1]
	v_pk_add_f32 v[30:31], v[4:5], v[0:1] neg_lo:[0,1] neg_hi:[0,1]
	v_mov_b32_e32 v10, v3
	v_pk_add_f32 v[0:1], v[6:7], v[44:45] neg_lo:[0,1] neg_hi:[0,1]
	s_movk_i32 s0, 0xcd
	v_pk_add_f32 v[2:3], v[14:15], v[10:11] neg_lo:[0,1] neg_hi:[0,1]
	v_mov_b32_e32 v9, v31
	ds_write_b64 v59, v[0:1] offset:32
	v_mul_lo_u16_sdwa v0, v88, s0 dst_sel:DWORD dst_unused:UNUSED_PAD src0_sel:BYTE_0 src1_sel:DWORD
	ds_write2_b64 v59, v[8:9], v[2:3] offset0:2 offset1:3
	v_lshrrev_b16_e32 v8, 11, v0
	v_mul_lo_u16_e32 v0, 10, v8
	v_sub_u16_e32 v9, v88, v0
	v_mov_b32_e32 v0, 9
	v_mul_u32_u24_sdwa v0, v9, v0 dst_sel:DWORD dst_unused:UNUSED_PAD src0_sel:BYTE_0 src1_sel:DWORD
	v_lshlrev_b32_e32 v14, 3, v0
	s_waitcnt lgkmcnt(0)
	s_barrier
	global_load_dwordx4 v[38:41], v14, s[4:5]
	global_load_dwordx4 v[42:45], v14, s[4:5] offset:16
	s_mov_b32 s0, 0xcccd
	v_mul_u32_u24_sdwa v0, v90, s0 dst_sel:DWORD dst_unused:UNUSED_PAD src0_sel:WORD_0 src1_sel:DWORD
	v_lshrrev_b32_e32 v10, 19, v0
	v_mul_lo_u16_e32 v0, 10, v10
	v_sub_u16_e32 v11, v90, v0
	v_mul_u32_u24_e32 v0, 9, v11
	v_lshlrev_b32_e32 v15, 3, v0
	global_load_dwordx4 v[0:3], v15, s[4:5]
	global_load_dwordx4 v[4:7], v15, s[4:5] offset:16
	global_load_dwordx4 v[46:49], v14, s[4:5] offset:32
	;; [unrolled: 1-line block ×5, first 2 shown]
	global_load_dwordx2 v[30:31], v14, s[4:5] offset:64
	global_load_dwordx2 v[56:57], v15, s[4:5] offset:64
	ds_read2_b32 v[34:35], v55 offset0:40 offset1:240
	ds_read_b32 v15, v62
	ds_read2_b32 v[60:61], v65 offset0:24 offset1:224
	ds_read_b32 v36, v63
	ds_read_b32 v14, v69
	ds_read_b32 v79, v54 offset:15200
	v_mul_u32_u24_e32 v8, 0x190, v8
	s_movk_i32 s0, 0x64
	v_cmp_gt_u32_e64 s[0:1], s0, v88
	s_waitcnt vmcnt(9) lgkmcnt(4)
	v_mul_f32_e32 v80, v15, v39
	v_mul_f32_e32 v39, v87, v39
	v_fma_f32 v15, v15, v38, -v39
	v_mul_f32_e32 v39, v86, v41
	v_fmac_f32_e32 v80, v87, v38
	s_waitcnt lgkmcnt(2)
	v_mul_f32_e32 v38, v36, v41
	v_fma_f32 v36, v36, v40, -v39
	s_waitcnt vmcnt(8)
	v_mul_f32_e32 v39, v35, v43
	v_fmac_f32_e32 v39, v27, v42
	v_mul_f32_e32 v27, v27, v43
	v_fma_f32 v35, v35, v42, -v27
	ds_read_b32 v27, v54 offset:2400
	s_waitcnt vmcnt(7)
	v_mul_f32_e32 v41, v34, v3
	v_mul_f32_e32 v3, v26, v3
	v_fmac_f32_e32 v41, v26, v2
	v_fma_f32 v3, v34, v2, -v3
	ds_read_b32 v34, v54
	s_waitcnt lgkmcnt(1)
	v_mul_f32_e32 v2, v27, v1
	v_mul_f32_e32 v1, v78, v1
	v_fmac_f32_e32 v2, v78, v0
	v_fma_f32 v0, v27, v0, -v1
	ds_read2_b32 v[26:27], v67 offset0:8 offset1:208
	s_waitcnt vmcnt(6)
	v_mul_f32_e32 v1, v60, v5
	v_mul_f32_e32 v5, v24, v5
	v_fmac_f32_e32 v1, v24, v4
	v_fma_f32 v24, v60, v4, -v5
	s_waitcnt lgkmcnt(0)
	v_mul_f32_e32 v42, v26, v7
	v_mul_f32_e32 v4, v22, v7
	v_fmac_f32_e32 v42, v22, v6
	v_fma_f32 v22, v26, v6, -v4
	ds_read2_b32 v[4:5], v64 offset0:24 offset1:224
	s_waitcnt vmcnt(5)
	v_mul_f32_e32 v26, v27, v47
	v_mul_f32_e32 v6, v23, v47
	v_fmac_f32_e32 v26, v23, v46
	v_fma_f32 v23, v27, v46, -v6
	s_waitcnt lgkmcnt(0)
	v_mul_f32_e32 v27, v5, v49
	v_mul_f32_e32 v6, v21, v49
	v_fmac_f32_e32 v27, v21, v48
	v_fma_f32 v21, v5, v48, -v6
	ds_read2_b32 v[6:7], v68 offset0:40 offset1:240
	v_fmac_f32_e32 v38, v86, v40
	v_mul_f32_e32 v40, v61, v45
	v_fmac_f32_e32 v40, v25, v44
	v_mul_f32_e32 v25, v25, v45
	s_waitcnt vmcnt(4)
	v_mul_f32_e32 v43, v4, v51
	v_mul_f32_e32 v5, v20, v51
	v_fma_f32 v25, v61, v44, -v25
	v_fmac_f32_e32 v43, v20, v50
	v_fma_f32 v20, v4, v50, -v5
	s_waitcnt lgkmcnt(0)
	v_mul_f32_e32 v44, v6, v53
	v_mul_f32_e32 v4, v18, v53
	v_fmac_f32_e32 v44, v18, v52
	v_fma_f32 v18, v6, v52, -v4
	ds_read2_b32 v[4:5], v58 offset0:24 offset1:224
	s_waitcnt vmcnt(3)
	v_mul_f32_e32 v45, v7, v71
	v_mul_f32_e32 v6, v19, v71
	v_fmac_f32_e32 v45, v19, v70
	v_fma_f32 v19, v7, v70, -v6
	v_mul_f32_e32 v6, v17, v73
	s_waitcnt lgkmcnt(0)
	v_mul_f32_e32 v46, v5, v73
	v_fma_f32 v5, v5, v72, -v6
	ds_read2_b32 v[6:7], v66 offset0:8 offset1:208
	v_fmac_f32_e32 v46, v17, v72
	s_waitcnt vmcnt(2)
	v_mul_f32_e32 v17, v4, v75
	v_fmac_f32_e32 v17, v16, v74
	v_mul_f32_e32 v16, v16, v75
	v_fma_f32 v4, v4, v74, -v16
	s_waitcnt lgkmcnt(0)
	v_mul_f32_e32 v16, v6, v77
	v_fmac_f32_e32 v16, v12, v76
	v_mul_f32_e32 v12, v12, v77
	v_fma_f32 v6, v6, v76, -v12
	s_waitcnt vmcnt(1)
	v_mul_f32_e32 v12, v7, v31
	v_fmac_f32_e32 v12, v13, v30
	v_mul_f32_e32 v13, v13, v31
	v_fma_f32 v7, v7, v30, -v13
	s_waitcnt vmcnt(0)
	v_mul_f32_e32 v13, v79, v57
	v_fmac_f32_e32 v13, v37, v56
	v_mul_f32_e32 v30, v37, v57
	v_sub_f32_e32 v31, v38, v40
	v_sub_f32_e32 v37, v46, v27
	v_add_f32_e32 v31, v31, v37
	v_add_f32_e32 v37, v40, v27
	v_fma_f32 v37, -0.5, v37, v29
	v_sub_f32_e32 v47, v36, v5
	v_fmamk_f32 v48, v47, 0xbf737871, v37
	v_sub_f32_e32 v49, v25, v21
	v_fmac_f32_e32 v37, 0x3f737871, v47
	v_fmac_f32_e32 v48, 0xbf167918, v49
	;; [unrolled: 1-line block ×5, first 2 shown]
	v_add_f32_e32 v31, v29, v38
	v_add_f32_e32 v31, v31, v40
	;; [unrolled: 1-line block ×4, first 2 shown]
	v_fmac_f32_e32 v29, -0.5, v50
	v_sub_f32_e32 v50, v40, v38
	v_sub_f32_e32 v51, v27, v46
	v_add_f32_e32 v31, v31, v46
	v_sub_f32_e32 v38, v38, v46
	v_sub_f32_e32 v27, v40, v27
	;; [unrolled: 1-line block ×4, first 2 shown]
	v_add_f32_e32 v40, v40, v46
	v_add_f32_e32 v46, v25, v21
	;; [unrolled: 1-line block ×3, first 2 shown]
	v_fmamk_f32 v51, v49, 0x3f737871, v29
	v_fmac_f32_e32 v29, 0xbf737871, v49
	v_fma_f32 v46, -0.5, v46, v34
	v_fmac_f32_e32 v51, 0xbf167918, v47
	v_fmac_f32_e32 v29, 0x3f167918, v47
	v_fmamk_f32 v47, v38, 0x3f737871, v46
	v_fmac_f32_e32 v46, 0xbf737871, v38
	v_fmac_f32_e32 v47, 0x3f167918, v27
	;; [unrolled: 1-line block ×5, first 2 shown]
	v_add_f32_e32 v40, v34, v36
	v_add_f32_e32 v49, v36, v5
	v_add_f32_e32 v40, v40, v25
	v_fmac_f32_e32 v34, -0.5, v49
	v_sub_f32_e32 v25, v25, v36
	v_add_f32_e32 v36, v40, v21
	v_add_f32_e32 v36, v36, v5
	v_sub_f32_e32 v5, v21, v5
	v_fmamk_f32 v21, v27, 0xbf737871, v34
	v_fmac_f32_e32 v34, 0x3f737871, v27
	v_add_f32_e32 v5, v25, v5
	v_fmac_f32_e32 v21, 0x3f167918, v38
	v_fmac_f32_e32 v34, 0xbf167918, v38
	;; [unrolled: 1-line block ×4, first 2 shown]
	v_sub_f32_e32 v5, v39, v26
	v_sub_f32_e32 v25, v12, v45
	v_add_f32_e32 v5, v5, v25
	v_add_f32_e32 v25, v26, v45
	v_fma_f32 v25, -0.5, v25, v80
	v_sub_f32_e32 v27, v35, v7
	v_fmamk_f32 v38, v27, 0xbf737871, v25
	v_sub_f32_e32 v40, v23, v19
	v_fmac_f32_e32 v25, 0x3f737871, v27
	v_fmac_f32_e32 v38, 0xbf167918, v40
	;; [unrolled: 1-line block ×5, first 2 shown]
	v_add_f32_e32 v5, v80, v39
	v_add_f32_e32 v49, v39, v12
	v_fmac_f32_e32 v51, 0x3e9e377a, v50
	v_fmac_f32_e32 v29, 0x3e9e377a, v50
	v_fmac_f32_e32 v80, -0.5, v49
	v_sub_f32_e32 v49, v26, v39
	v_sub_f32_e32 v50, v45, v12
	v_add_f32_e32 v5, v5, v26
	v_add_f32_e32 v49, v49, v50
	v_fmamk_f32 v50, v40, 0x3f737871, v80
	v_fmac_f32_e32 v80, 0xbf737871, v40
	v_add_f32_e32 v5, v5, v45
	v_fmac_f32_e32 v50, 0xbf167918, v27
	v_fmac_f32_e32 v80, 0x3f167918, v27
	v_add_f32_e32 v5, v5, v12
	v_sub_f32_e32 v12, v39, v12
	v_sub_f32_e32 v27, v35, v23
	;; [unrolled: 1-line block ×3, first 2 shown]
	v_add_f32_e32 v27, v27, v39
	v_add_f32_e32 v39, v23, v19
	v_fma_f32 v39, -0.5, v39, v15
	v_sub_f32_e32 v26, v26, v45
	v_fmamk_f32 v40, v12, 0x3f737871, v39
	v_fmac_f32_e32 v39, 0xbf737871, v12
	v_fmac_f32_e32 v40, 0x3f167918, v26
	;; [unrolled: 1-line block ×5, first 2 shown]
	v_add_f32_e32 v27, v15, v35
	v_add_f32_e32 v45, v35, v7
	v_add_f32_e32 v27, v27, v23
	v_fmac_f32_e32 v15, -0.5, v45
	v_add_f32_e32 v27, v27, v19
	v_sub_f32_e32 v23, v23, v35
	v_add_f32_e32 v27, v27, v7
	v_sub_f32_e32 v7, v19, v7
	v_fmamk_f32 v19, v26, 0xbf737871, v15
	v_fmac_f32_e32 v15, 0x3f737871, v26
	v_add_f32_e32 v7, v23, v7
	v_fmac_f32_e32 v15, 0xbf167918, v12
	v_fmac_f32_e32 v19, 0x3f167918, v12
	;; [unrolled: 1-line block ×5, first 2 shown]
	v_mul_f32_e32 v26, 0xbf737871, v15
	v_mul_f32_e32 v35, 0xbf167918, v39
	v_fmac_f32_e32 v50, 0x3e9e377a, v49
	v_mul_f32_e32 v7, 0xbf167918, v40
	v_mul_f32_e32 v12, 0x3f4f1bbd, v40
	v_mul_f32_e32 v23, 0xbf737871, v19
	v_mul_f32_e32 v19, 0x3e9e377a, v19
	v_fmac_f32_e32 v26, 0xbe9e377a, v80
	v_fmac_f32_e32 v35, 0xbf4f1bbd, v25
	;; [unrolled: 1-line block ×6, first 2 shown]
	v_mul_f32_e32 v15, 0xbe9e377a, v15
	v_mul_f32_e32 v38, 0xbf4f1bbd, v39
	v_add_f32_e32 v40, v29, v26
	v_sub_f32_e32 v26, v29, v26
	v_add_f32_e32 v29, v37, v35
	v_sub_f32_e32 v35, v37, v35
	v_add_f32_e32 v50, v36, v27
	v_sub_f32_e32 v27, v36, v27
	v_sub_f32_e32 v36, v41, v42
	v_sub_f32_e32 v37, v16, v44
	v_fmac_f32_e32 v15, 0x3f737871, v80
	v_fmac_f32_e32 v38, 0x3f167918, v25
	v_add_f32_e32 v36, v36, v37
	v_add_f32_e32 v37, v42, v44
	;; [unrolled: 1-line block ×3, first 2 shown]
	v_sub_f32_e32 v19, v21, v19
	v_add_f32_e32 v21, v34, v15
	v_sub_f32_e32 v15, v34, v15
	v_add_f32_e32 v34, v46, v38
	v_sub_f32_e32 v53, v46, v38
	v_fma_f32 v37, -0.5, v37, v28
	v_sub_f32_e32 v38, v3, v6
	v_fmamk_f32 v45, v38, 0xbf737871, v37
	v_sub_f32_e32 v46, v22, v18
	v_fmac_f32_e32 v37, 0x3f737871, v38
	v_fmac_f32_e32 v45, 0xbf167918, v46
	;; [unrolled: 1-line block ×3, first 2 shown]
	v_add_f32_e32 v39, v51, v23
	v_sub_f32_e32 v23, v51, v23
	v_add_f32_e32 v51, v47, v12
	v_sub_f32_e32 v12, v47, v12
	v_fmac_f32_e32 v45, 0x3e9e377a, v36
	v_fmac_f32_e32 v37, 0x3e9e377a, v36
	v_add_f32_e32 v36, v28, v41
	v_add_f32_e32 v47, v41, v16
	;; [unrolled: 1-line block ×3, first 2 shown]
	v_sub_f32_e32 v5, v31, v5
	v_add_f32_e32 v31, v48, v7
	v_sub_f32_e32 v7, v48, v7
	v_fmac_f32_e32 v28, -0.5, v47
	v_sub_f32_e32 v47, v42, v41
	v_sub_f32_e32 v48, v44, v16
	v_add_f32_e32 v36, v36, v42
	v_add_f32_e32 v47, v47, v48
	v_fmamk_f32 v48, v46, 0x3f737871, v28
	v_fmac_f32_e32 v28, 0xbf737871, v46
	v_add_f32_e32 v36, v36, v44
	v_fmac_f32_e32 v48, 0xbf167918, v38
	v_fmac_f32_e32 v28, 0x3f167918, v38
	v_add_f32_e32 v36, v36, v16
	v_sub_f32_e32 v16, v41, v16
	v_sub_f32_e32 v38, v42, v44
	;; [unrolled: 1-line block ×4, first 2 shown]
	v_add_f32_e32 v41, v41, v42
	v_add_f32_e32 v42, v22, v18
	v_fma_f32 v42, -0.5, v42, v14
	v_fmamk_f32 v44, v16, 0x3f737871, v42
	v_fmac_f32_e32 v42, 0xbf737871, v16
	v_fmac_f32_e32 v44, 0x3f167918, v38
	;; [unrolled: 1-line block ×5, first 2 shown]
	v_add_f32_e32 v41, v14, v3
	v_add_f32_e32 v41, v41, v22
	;; [unrolled: 1-line block ×3, first 2 shown]
	v_sub_f32_e32 v3, v22, v3
	v_add_f32_e32 v22, v41, v18
	v_fmac_f32_e32 v14, -0.5, v46
	v_add_f32_e32 v22, v22, v6
	v_sub_f32_e32 v6, v18, v6
	v_add_f32_e32 v3, v3, v6
	v_fmamk_f32 v6, v38, 0xbf737871, v14
	v_fmac_f32_e32 v14, 0x3f737871, v38
	v_fmac_f32_e32 v6, 0x3f167918, v16
	;; [unrolled: 1-line block ×5, first 2 shown]
	v_sub_f32_e32 v3, v1, v43
	v_sub_f32_e32 v16, v13, v17
	v_fma_f32 v30, v79, v56, -v30
	v_add_f32_e32 v3, v3, v16
	v_add_f32_e32 v16, v43, v17
	v_fma_f32 v16, -0.5, v16, v2
	v_sub_f32_e32 v18, v24, v30
	v_fmamk_f32 v38, v18, 0xbf737871, v16
	v_sub_f32_e32 v41, v20, v4
	v_fmac_f32_e32 v16, 0x3f737871, v18
	v_fmac_f32_e32 v38, 0xbf167918, v41
	v_fmac_f32_e32 v16, 0x3f167918, v41
	v_fmac_f32_e32 v38, 0x3e9e377a, v3
	v_fmac_f32_e32 v16, 0x3e9e377a, v3
	v_add_f32_e32 v3, v2, v1
	v_add_f32_e32 v46, v1, v13
	v_fmac_f32_e32 v48, 0x3e9e377a, v47
	v_fmac_f32_e32 v28, 0x3e9e377a, v47
	v_fmac_f32_e32 v2, -0.5, v46
	v_sub_f32_e32 v46, v43, v1
	v_sub_f32_e32 v47, v17, v13
	v_add_f32_e32 v3, v3, v43
	v_add_f32_e32 v46, v46, v47
	v_fmamk_f32 v47, v41, 0x3f737871, v2
	v_fmac_f32_e32 v2, 0xbf737871, v41
	v_add_f32_e32 v3, v3, v17
	v_fmac_f32_e32 v47, 0xbf167918, v18
	v_fmac_f32_e32 v2, 0x3f167918, v18
	v_add_f32_e32 v3, v3, v13
	v_sub_f32_e32 v1, v1, v13
	v_sub_f32_e32 v13, v43, v17
	;; [unrolled: 1-line block ×4, first 2 shown]
	v_add_f32_e32 v17, v17, v18
	v_add_f32_e32 v18, v20, v4
	v_fma_f32 v18, -0.5, v18, v0
	v_fmamk_f32 v41, v1, 0x3f737871, v18
	v_fmac_f32_e32 v18, 0xbf737871, v1
	v_fmac_f32_e32 v41, 0x3f167918, v13
	;; [unrolled: 1-line block ×5, first 2 shown]
	v_add_f32_e32 v17, v0, v24
	v_add_f32_e32 v43, v24, v30
	;; [unrolled: 1-line block ×3, first 2 shown]
	v_fmac_f32_e32 v0, -0.5, v43
	v_sub_f32_e32 v20, v20, v24
	v_add_f32_e32 v17, v17, v4
	v_sub_f32_e32 v4, v4, v30
	v_add_f32_e32 v4, v20, v4
	v_fmamk_f32 v20, v13, 0xbf737871, v0
	v_fmac_f32_e32 v0, 0x3f737871, v13
	v_fmac_f32_e32 v0, 0xbf167918, v1
	;; [unrolled: 1-line block ×4, first 2 shown]
	v_mul_f32_e32 v24, 0xbf737871, v0
	v_mul_f32_e32 v0, 0xbe9e377a, v0
	v_fmac_f32_e32 v20, 0x3f167918, v1
	v_fmac_f32_e32 v24, 0xbe9e377a, v2
	;; [unrolled: 1-line block ×3, first 2 shown]
	v_mul_f32_e32 v2, 0xbf167918, v18
	v_fmac_f32_e32 v20, 0x3e9e377a, v4
	v_mul_f32_e32 v1, 0xbf167918, v41
	v_mul_f32_e32 v4, 0x3f4f1bbd, v41
	v_fmac_f32_e32 v2, 0xbf4f1bbd, v16
	v_fmac_f32_e32 v1, 0x3f4f1bbd, v38
	;; [unrolled: 1-line block ×3, first 2 shown]
	v_add_f32_e32 v38, v28, v24
	v_sub_f32_e32 v24, v28, v24
	v_add_f32_e32 v28, v37, v2
	v_sub_f32_e32 v2, v37, v2
	v_mov_b32_e32 v37, 2
	v_lshlrev_b32_sdwa v9, v37, v9 dst_sel:DWORD dst_unused:UNUSED_PAD src0_sel:DWORD src1_sel:BYTE_0
	v_fmac_f32_e32 v47, 0x3e9e377a, v46
	v_mul_f32_e32 v13, 0xbf737871, v20
	v_mul_f32_e32 v20, 0x3e9e377a, v20
	v_add3_u32 v8, 0, v8, v9
	v_fmac_f32_e32 v13, 0x3e9e377a, v47
	v_fmac_f32_e32 v20, 0x3f737871, v47
	v_mul_f32_e32 v18, 0xbf4f1bbd, v18
	s_barrier
	ds_write2_b32 v8, v25, v31 offset1:10
	ds_write2_b32 v8, v39, v40 offset0:20 offset1:30
	ds_write2_b32 v8, v29, v5 offset0:40 offset1:50
	ds_write2_b32 v8, v7, v23 offset0:60 offset1:70
	ds_write2_b32 v8, v26, v35 offset0:80 offset1:90
	v_mul_u32_u24_e32 v5, 0x190, v10
	v_lshlrev_b32_e32 v7, 2, v11
	v_add_f32_e32 v17, v17, v30
	v_fmac_f32_e32 v18, 0x3f167918, v16
	v_add_f32_e32 v16, v36, v3
	v_sub_f32_e32 v3, v36, v3
	v_add_f32_e32 v30, v45, v1
	v_add_f32_e32 v36, v48, v13
	;; [unrolled: 1-line block ×3, first 2 shown]
	v_sub_f32_e32 v6, v6, v20
	v_add_f32_e32 v20, v14, v0
	v_sub_f32_e32 v0, v14, v0
	v_add3_u32 v5, 0, v5, v7
	v_sub_f32_e32 v1, v45, v1
	v_sub_f32_e32 v13, v48, v13
	v_add_f32_e32 v60, v22, v17
	v_sub_f32_e32 v17, v22, v17
	v_add_f32_e32 v22, v44, v4
	;; [unrolled: 2-line block ×3, first 2 shown]
	v_sub_f32_e32 v18, v42, v18
	ds_write2_b32 v5, v16, v30 offset1:10
	ds_write2_b32 v5, v36, v38 offset0:20 offset1:30
	ds_write2_b32 v5, v28, v3 offset0:40 offset1:50
	;; [unrolled: 1-line block ×4, first 2 shown]
	s_waitcnt lgkmcnt(0)
	s_barrier
	ds_read2_b32 v[48:49], v55 offset0:40 offset1:240
	ds_read2_b32 v[46:47], v65 offset0:24 offset1:224
	;; [unrolled: 1-line block ×7, first 2 shown]
	ds_read_b32 v56, v69
	ds_read_b32 v57, v54
	ds_read_b32 v71, v54 offset:2400
	ds_read_b32 v72, v63
	ds_read_b32 v73, v62
	ds_read_b32 v61, v54 offset:15200
	s_waitcnt lgkmcnt(0)
	s_barrier
	ds_write2_b32 v8, v50, v51 offset1:10
	ds_write2_b32 v8, v52, v21 offset0:20 offset1:30
	ds_write2_b32 v8, v34, v27 offset0:40 offset1:50
	ds_write2_b32 v8, v12, v19 offset0:60 offset1:70
	ds_write2_b32 v8, v15, v53 offset0:80 offset1:90
	ds_write2_b32 v5, v60, v22 offset1:10
	ds_write2_b32 v5, v70, v20 offset0:20 offset1:30
	ds_write2_b32 v5, v14, v17 offset0:40 offset1:50
	;; [unrolled: 1-line block ×4, first 2 shown]
	v_add_u32_e32 v0, 0xffffff9c, v88
	v_cndmask_b32_e64 v70, v0, v88, s[0:1]
	v_mul_i32_i24_e32 v34, 9, v70
	v_mov_b32_e32 v35, 0
	v_lshl_add_u64 v[50:51], v[34:35], 3, s[4:5]
	s_waitcnt lgkmcnt(0)
	s_barrier
	global_load_dwordx4 v[0:3], v[50:51], off offset:720
	v_lshrrev_b16_e32 v4, 2, v90
	v_mul_u32_u24_e32 v4, 0x147b, v4
	v_lshrrev_b32_e32 v34, 17, v4
	v_mul_lo_u16_e32 v4, 0x64, v34
	v_sub_u16_e32 v60, v90, v4
	v_mul_u32_u24_e32 v4, 9, v60
	v_lshlrev_b32_e32 v74, 3, v4
	global_load_dwordx4 v[4:7], v74, s[4:5] offset:720
	global_load_dwordx4 v[8:11], v[50:51], off offset:736
	global_load_dwordx4 v[12:15], v74, s[4:5] offset:736
	global_load_dwordx4 v[16:19], v[50:51], off offset:752
	;; [unrolled: 2-line block ×3, first 2 shown]
	global_load_dwordx4 v[28:31], v74, s[4:5] offset:768
	global_load_dwordx2 v[52:53], v[50:51], off offset:784
	ds_read_b32 v75, v62
	global_load_dwordx2 v[50:51], v74, s[4:5] offset:784
	ds_read_b32 v74, v63
	ds_read_b32 v76, v69
	ds_read_b32 v77, v54 offset:15200
	ds_read_b32 v79, v54 offset:2400
	s_movk_i32 s0, 0x63
	v_cmp_lt_u32_e64 s[0:1], s0, v88
	s_waitcnt vmcnt(9) lgkmcnt(4)
	v_mul_f32_e32 v78, v75, v1
	v_mul_f32_e32 v1, v73, v1
	v_fmac_f32_e32 v78, v73, v0
	v_fma_f32 v73, v75, v0, -v1
	s_waitcnt lgkmcnt(3)
	v_mul_f32_e32 v75, v74, v3
	v_mul_f32_e32 v0, v72, v3
	v_fmac_f32_e32 v75, v72, v2
	v_fma_f32 v72, v74, v2, -v0
	ds_read2_b32 v[0:1], v55 offset0:40 offset1:240
	ds_read_b32 v74, v54
	s_waitcnt vmcnt(8) lgkmcnt(2)
	v_mul_f32_e32 v80, v79, v5
	v_mul_f32_e32 v2, v71, v5
	v_fmac_f32_e32 v80, v71, v4
	v_fma_f32 v5, v79, v4, -v2
	s_waitcnt lgkmcnt(1)
	v_mul_f32_e32 v71, v0, v7
	v_mul_f32_e32 v2, v48, v7
	v_fmac_f32_e32 v71, v48, v6
	v_fma_f32 v6, v0, v6, -v2
	ds_read2_b32 v[2:3], v65 offset0:24 offset1:224
	s_waitcnt vmcnt(7)
	v_mul_f32_e32 v0, v49, v9
	v_fma_f32 v7, v1, v8, -v0
	v_mul_f32_e32 v0, v47, v11
	v_mul_f32_e32 v4, v1, v9
	s_waitcnt lgkmcnt(0)
	v_fma_f32 v9, v3, v10, -v0
	ds_read2_b32 v[0:1], v67 offset0:8 offset1:208
	v_fmac_f32_e32 v4, v49, v8
	v_mul_f32_e32 v8, v3, v11
	s_waitcnt vmcnt(6)
	v_mul_f32_e32 v3, v46, v13
	v_fmac_f32_e32 v8, v47, v10
	v_mul_f32_e32 v10, v2, v13
	v_fma_f32 v11, v2, v12, -v3
	v_mul_f32_e32 v2, v44, v15
	v_fmac_f32_e32 v10, v46, v12
	s_waitcnt lgkmcnt(0)
	v_mul_f32_e32 v46, v0, v15
	v_fma_f32 v15, v0, v14, -v2
	ds_read2_b32 v[2:3], v64 offset0:24 offset1:224
	s_waitcnt vmcnt(5)
	v_mul_f32_e32 v0, v45, v17
	v_fma_f32 v13, v1, v16, -v0
	v_mul_f32_e32 v0, v43, v19
	v_mul_f32_e32 v12, v1, v17
	s_waitcnt lgkmcnt(0)
	v_fma_f32 v17, v3, v18, -v0
	ds_read2_b32 v[0:1], v68 offset0:40 offset1:240
	v_fmac_f32_e32 v46, v44, v14
	v_fmac_f32_e32 v12, v45, v16
	v_mul_f32_e32 v14, v3, v19
	s_waitcnt vmcnt(4)
	v_mul_f32_e32 v16, v2, v21
	v_mul_f32_e32 v3, v42, v21
	v_fmac_f32_e32 v16, v42, v20
	v_fma_f32 v42, v2, v20, -v3
	v_mul_f32_e32 v2, v40, v23
	v_fmac_f32_e32 v14, v43, v18
	s_waitcnt lgkmcnt(0)
	v_mul_f32_e32 v43, v0, v23
	v_fma_f32 v23, v0, v22, -v2
	ds_read2_b32 v[2:3], v58 offset0:24 offset1:224
	s_waitcnt vmcnt(3)
	v_mul_f32_e32 v0, v41, v25
	v_fma_f32 v19, v1, v24, -v0
	v_mul_f32_e32 v0, v39, v27
	v_mul_f32_e32 v18, v1, v25
	s_waitcnt lgkmcnt(0)
	v_mul_f32_e32 v20, v3, v27
	v_fma_f32 v3, v3, v26, -v0
	ds_read2_b32 v[0:1], v66 offset0:8 offset1:208
	v_fmac_f32_e32 v43, v40, v22
	s_waitcnt vmcnt(2)
	v_mul_f32_e32 v22, v38, v29
	v_mul_f32_e32 v21, v2, v29
	v_fma_f32 v2, v2, v28, -v22
	v_mul_f32_e32 v22, v36, v31
	v_fmac_f32_e32 v20, v39, v26
	s_waitcnt lgkmcnt(0)
	v_mul_f32_e32 v27, v0, v31
	v_fma_f32 v0, v0, v30, -v22
	s_waitcnt vmcnt(1)
	v_mul_f32_e32 v22, v1, v53
	s_waitcnt vmcnt(0)
	v_mul_f32_e32 v25, v61, v51
	v_fmac_f32_e32 v18, v41, v24
	v_fmac_f32_e32 v27, v36, v30
	;; [unrolled: 1-line block ×3, first 2 shown]
	v_mul_f32_e32 v24, v37, v53
	v_fma_f32 v30, v77, v50, -v25
	v_sub_f32_e32 v25, v75, v8
	v_sub_f32_e32 v26, v20, v14
	v_fmac_f32_e32 v21, v38, v28
	v_fma_f32 v1, v1, v52, -v24
	v_add_f32_e32 v25, v25, v26
	v_sub_f32_e32 v26, v4, v12
	v_sub_f32_e32 v28, v22, v18
	v_add_f32_e32 v26, v26, v28
	v_sub_f32_e32 v28, v7, v13
	v_sub_f32_e32 v29, v1, v19
	v_add_f32_e32 v48, v13, v19
	v_mul_f32_e32 v24, v77, v51
	v_add_f32_e32 v28, v28, v29
	v_mov_b32_e32 v29, 0xfa0
	v_add_f32_e32 v41, v12, v18
	v_fma_f32 v48, -0.5, v48, v73
	v_sub_f32_e32 v49, v4, v22
	v_fmac_f32_e32 v24, v61, v50
	v_cndmask_b32_e64 v29, 0, v29, s[0:1]
	v_lshlrev_b32_e32 v31, 2, v70
	v_add_f32_e32 v36, v8, v14
	v_fma_f32 v41, -0.5, v41, v78
	v_sub_f32_e32 v44, v7, v1
	v_fmamk_f32 v50, v49, 0x3f737871, v48
	v_sub_f32_e32 v51, v12, v18
	v_add3_u32 v31, 0, v29, v31
	v_add_f32_e32 v29, v57, v75
	v_fma_f32 v36, -0.5, v36, v57
	v_sub_f32_e32 v37, v72, v3
	v_add_f32_e32 v40, v78, v4
	v_fmamk_f32 v45, v44, 0xbf737871, v41
	v_sub_f32_e32 v47, v13, v19
	v_fmac_f32_e32 v50, 0x3f167918, v51
	v_add_f32_e32 v29, v29, v8
	v_fmamk_f32 v38, v37, 0xbf737871, v36
	v_sub_f32_e32 v39, v9, v17
	v_add_f32_e32 v40, v40, v12
	v_fmac_f32_e32 v45, 0xbf167918, v47
	v_fmac_f32_e32 v50, 0x3e9e377a, v28
	v_add_f32_e32 v29, v29, v14
	v_fmac_f32_e32 v38, 0xbf167918, v39
	v_add_f32_e32 v40, v40, v18
	v_fmac_f32_e32 v45, 0x3e9e377a, v26
	v_mul_f32_e32 v52, 0xbf167918, v50
	v_add_f32_e32 v29, v29, v20
	v_fmac_f32_e32 v38, 0x3e9e377a, v25
	v_add_f32_e32 v40, v40, v22
	v_fmac_f32_e32 v52, 0x3f4f1bbd, v45
	v_add_f32_e32 v53, v29, v40
	v_add_f32_e32 v61, v38, v52
	s_barrier
	ds_write2_b32 v31, v53, v61 offset1:100
	v_add_f32_e32 v53, v75, v20
	v_fmac_f32_e32 v57, -0.5, v53
	v_sub_f32_e32 v53, v8, v75
	v_sub_f32_e32 v61, v14, v20
	v_add_f32_e32 v53, v53, v61
	v_fmamk_f32 v61, v39, 0x3f737871, v57
	v_fmac_f32_e32 v57, 0xbf737871, v39
	v_fmac_f32_e32 v61, 0xbf167918, v37
	;; [unrolled: 1-line block ×5, first 2 shown]
	v_add_f32_e32 v53, v4, v22
	v_fmac_f32_e32 v78, -0.5, v53
	v_sub_f32_e32 v4, v12, v4
	v_sub_f32_e32 v12, v18, v22
	v_fmamk_f32 v53, v47, 0x3f737871, v78
	v_fmac_f32_e32 v78, 0xbf737871, v47
	v_add_f32_e32 v4, v4, v12
	v_fmac_f32_e32 v53, 0xbf167918, v44
	v_fmac_f32_e32 v78, 0x3f167918, v44
	v_add_f32_e32 v12, v7, v1
	v_fmac_f32_e32 v53, 0x3e9e377a, v4
	v_fmac_f32_e32 v78, 0x3e9e377a, v4
	v_add_f32_e32 v4, v73, v7
	v_fmac_f32_e32 v73, -0.5, v12
	v_sub_f32_e32 v7, v13, v7
	v_sub_f32_e32 v12, v19, v1
	v_fmamk_f32 v70, v51, 0xbf737871, v73
	v_fmac_f32_e32 v73, 0x3f737871, v51
	v_add_f32_e32 v7, v7, v12
	v_fmac_f32_e32 v70, 0x3f167918, v49
	v_fmac_f32_e32 v73, 0xbf167918, v49
	;; [unrolled: 1-line block ×4, first 2 shown]
	v_mul_f32_e32 v7, 0xbf737871, v70
	v_mul_f32_e32 v12, 0xbf737871, v73
	v_fmac_f32_e32 v48, 0xbf737871, v49
	v_fmac_f32_e32 v7, 0x3e9e377a, v53
	;; [unrolled: 1-line block ×5, first 2 shown]
	v_add_f32_e32 v18, v61, v7
	v_add_f32_e32 v22, v57, v12
	v_add_u32_e32 v77, 0x200, v31
	v_fmac_f32_e32 v36, 0x3f737871, v37
	v_fmac_f32_e32 v41, 0x3f167918, v47
	v_fmac_f32_e32 v48, 0x3e9e377a, v28
	ds_write2_b32 v77, v18, v22 offset0:72 offset1:172
	v_fmac_f32_e32 v36, 0x3f167918, v39
	v_fmac_f32_e32 v41, 0x3e9e377a, v26
	v_mul_f32_e32 v22, 0xbf167918, v48
	v_fmac_f32_e32 v36, 0x3e9e377a, v25
	v_fmac_f32_e32 v22, 0xbf4f1bbd, v41
	v_sub_f32_e32 v18, v29, v40
	v_add_f32_e32 v25, v36, v22
	v_add_u32_e32 v39, 0x400, v31
	ds_write2_b32 v39, v25, v18 offset0:144 offset1:244
	v_sub_f32_e32 v18, v38, v52
	v_sub_f32_e32 v7, v61, v7
	v_add_u32_e32 v38, 0x800, v31
	ds_write2_b32 v38, v18, v7 offset0:88 offset1:188
	v_sub_f32_e32 v7, v57, v12
	v_sub_f32_e32 v12, v36, v22
	;; [unrolled: 4-line block ×3, first 2 shown]
	v_add_f32_e32 v7, v7, v12
	v_sub_f32_e32 v12, v10, v16
	v_sub_f32_e32 v18, v24, v21
	v_add_f32_e32 v12, v12, v18
	v_sub_f32_e32 v18, v11, v42
	v_sub_f32_e32 v22, v30, v2
	v_add_f32_e32 v51, v42, v2
	v_add_f32_e32 v18, v18, v22
	v_mul_u32_u24_e32 v22, 0xfa0, v34
	v_lshlrev_b32_e32 v25, 2, v60
	v_add_f32_e32 v37, v16, v21
	v_fma_f32 v51, -0.5, v51, v5
	v_sub_f32_e32 v52, v10, v24
	v_add3_u32 v34, 0, v22, v25
	v_add_f32_e32 v25, v46, v43
	v_fma_f32 v47, -0.5, v37, v80
	v_sub_f32_e32 v37, v11, v30
	v_fmamk_f32 v57, v52, 0x3f737871, v51
	v_sub_f32_e32 v60, v16, v21
	v_add_f32_e32 v22, v56, v71
	v_fma_f32 v25, -0.5, v25, v56
	v_sub_f32_e32 v26, v6, v0
	v_add_f32_e32 v36, v80, v10
	v_fmamk_f32 v49, v37, 0xbf737871, v47
	v_sub_f32_e32 v40, v42, v2
	v_fmac_f32_e32 v57, 0x3f167918, v60
	v_add_f32_e32 v22, v22, v46
	v_fmamk_f32 v28, v26, 0xbf737871, v25
	v_sub_f32_e32 v29, v15, v23
	v_add_f32_e32 v36, v36, v16
	v_fmac_f32_e32 v49, 0xbf167918, v40
	v_fmac_f32_e32 v57, 0x3e9e377a, v18
	v_add_f32_e32 v22, v22, v43
	v_fmac_f32_e32 v28, 0xbf167918, v29
	v_add_f32_e32 v36, v36, v21
	v_fmac_f32_e32 v49, 0x3e9e377a, v12
	v_mul_f32_e32 v61, 0xbf167918, v57
	v_add_f32_e32 v22, v22, v27
	v_fmac_f32_e32 v28, 0x3e9e377a, v7
	v_add_f32_e32 v36, v36, v24
	v_fmac_f32_e32 v61, 0x3f4f1bbd, v49
	v_add_f32_e32 v79, v22, v36
	v_add_f32_e32 v81, v28, v61
	ds_write2_b32 v34, v79, v81 offset1:100
	v_add_f32_e32 v79, v71, v27
	v_fmac_f32_e32 v56, -0.5, v79
	v_sub_f32_e32 v79, v46, v71
	v_sub_f32_e32 v81, v43, v27
	v_add_f32_e32 v79, v79, v81
	v_fmamk_f32 v81, v29, 0x3f737871, v56
	v_fmac_f32_e32 v56, 0xbf737871, v29
	v_fmac_f32_e32 v81, 0xbf167918, v26
	v_fmac_f32_e32 v56, 0x3f167918, v26
	v_fmac_f32_e32 v81, 0x3e9e377a, v79
	v_fmac_f32_e32 v56, 0x3e9e377a, v79
	v_add_f32_e32 v79, v10, v24
	v_fmac_f32_e32 v80, -0.5, v79
	v_sub_f32_e32 v10, v16, v10
	v_sub_f32_e32 v16, v21, v24
	v_fmamk_f32 v79, v40, 0x3f737871, v80
	v_fmac_f32_e32 v80, 0xbf737871, v40
	v_add_f32_e32 v10, v10, v16
	v_fmac_f32_e32 v79, 0xbf167918, v37
	v_fmac_f32_e32 v80, 0x3f167918, v37
	;; [unrolled: 1-line block ×4, first 2 shown]
	v_add_f32_e32 v10, v11, v30
	v_add_f32_e32 v82, v5, v11
	v_fmac_f32_e32 v5, -0.5, v10
	v_sub_f32_e32 v10, v42, v11
	v_sub_f32_e32 v11, v2, v30
	v_fmamk_f32 v83, v60, 0xbf737871, v5
	v_fmac_f32_e32 v5, 0x3f737871, v60
	v_add_f32_e32 v10, v10, v11
	v_fmac_f32_e32 v83, 0x3f167918, v52
	v_fmac_f32_e32 v5, 0xbf167918, v52
	;; [unrolled: 1-line block ×7, first 2 shown]
	v_mul_f32_e32 v10, 0xbf737871, v83
	v_mul_f32_e32 v11, 0xbf737871, v5
	v_fmac_f32_e32 v25, 0x3f737871, v26
	v_fmac_f32_e32 v47, 0x3f167918, v40
	;; [unrolled: 1-line block ×3, first 2 shown]
	v_add_f32_e32 v4, v4, v13
	v_fmac_f32_e32 v10, 0x3e9e377a, v79
	v_fmac_f32_e32 v11, 0xbe9e377a, v80
	;; [unrolled: 1-line block ×4, first 2 shown]
	v_mul_f32_e32 v12, 0xbf167918, v51
	v_add_f32_e32 v4, v4, v19
	v_add_f32_e32 v16, v81, v10
	;; [unrolled: 1-line block ×3, first 2 shown]
	v_add_u32_e32 v84, 0x200, v34
	v_fmac_f32_e32 v25, 0x3e9e377a, v7
	v_fmac_f32_e32 v12, 0xbf4f1bbd, v47
	v_add_f32_e32 v1, v4, v1
	v_add_f32_e32 v4, v74, v72
	ds_write2_b32 v84, v16, v21 offset0:72 offset1:172
	v_sub_f32_e32 v7, v22, v36
	v_add_f32_e32 v16, v25, v12
	v_add_u32_e32 v52, 0x400, v34
	v_add_f32_e32 v4, v4, v9
	ds_write2_b32 v52, v16, v7 offset0:144 offset1:244
	v_sub_f32_e32 v7, v28, v61
	v_sub_f32_e32 v10, v81, v10
	v_add_u32_e32 v60, 0x800, v34
	v_mul_f32_e32 v50, 0x3f4f1bbd, v50
	v_add_f32_e32 v4, v4, v17
	ds_write2_b32 v60, v7, v10 offset0:88 offset1:188
	v_sub_f32_e32 v7, v56, v11
	v_sub_f32_e32 v10, v25, v12
	v_add_u32_e32 v56, 0xc00, v34
	v_fmac_f32_e32 v50, 0x3f167918, v45
	v_add_f32_e32 v45, v4, v3
	v_add_f32_e32 v4, v9, v17
	ds_write2_b32 v56, v7, v10 offset0:32 offset1:132
	v_sub_f32_e32 v7, v75, v20
	v_fma_f32 v81, -0.5, v4, v74
	v_sub_f32_e32 v61, v8, v14
	v_sub_f32_e32 v8, v72, v9
	;; [unrolled: 1-line block ×3, first 2 shown]
	v_fmamk_f32 v85, v7, 0x3f737871, v81
	v_add_f32_e32 v75, v8, v10
	v_fmac_f32_e32 v85, 0x3f167918, v61
	v_fmac_f32_e32 v85, 0x3e9e377a, v75
	s_waitcnt lgkmcnt(0)
	s_barrier
	ds_read2_b32 v[28:29], v58 offset0:24 offset1:224
	ds_read2_b32 v[20:21], v66 offset0:8 offset1:208
	;; [unrolled: 1-line block ×3, first 2 shown]
	v_lshl_add_u32 v4, v92, 2, 0
	ds_read_b32 v40, v54
	ds_read2_b32 v[36:37], v55 offset0:40 offset1:240
	ds_read2_b32 v[10:11], v67 offset0:8 offset1:208
	;; [unrolled: 1-line block ×4, first 2 shown]
	ds_read_b32 v26, v69
	ds_read_b32 v16, v4
	;; [unrolled: 1-line block ×4, first 2 shown]
	ds_read_b32 v14, v54 offset:15200
	v_add_f32_e32 v69, v45, v1
	v_add_f32_e32 v86, v85, v50
	s_waitcnt lgkmcnt(0)
	s_barrier
	ds_write2_b32 v31, v69, v86 offset1:100
	v_add_f32_e32 v31, v72, v3
	v_fmac_f32_e32 v74, -0.5, v31
	v_sub_f32_e32 v9, v9, v72
	v_sub_f32_e32 v3, v17, v3
	v_add_f32_e32 v3, v9, v3
	v_fmamk_f32 v9, v61, 0xbf737871, v74
	v_fmac_f32_e32 v74, 0x3f737871, v61
	v_fmac_f32_e32 v9, 0x3f167918, v7
	;; [unrolled: 1-line block ×5, first 2 shown]
	v_mul_f32_e32 v3, 0x3e9e377a, v70
	v_mul_f32_e32 v17, 0xbe9e377a, v73
	v_fmac_f32_e32 v81, 0xbf737871, v7
	v_fmac_f32_e32 v3, 0x3f737871, v53
	;; [unrolled: 1-line block ×4, first 2 shown]
	v_mul_f32_e32 v7, 0xbf4f1bbd, v48
	v_add_f32_e32 v31, v9, v3
	v_add_f32_e32 v53, v74, v17
	v_fmac_f32_e32 v81, 0x3e9e377a, v75
	v_fmac_f32_e32 v7, 0x3f167918, v41
	ds_write2_b32 v77, v31, v53 offset0:72 offset1:172
	v_sub_f32_e32 v1, v45, v1
	v_add_f32_e32 v31, v81, v7
	ds_write2_b32 v39, v31, v1 offset0:144 offset1:244
	v_sub_f32_e32 v31, v6, v15
	v_sub_f32_e32 v39, v0, v23
	v_add_f32_e32 v31, v31, v39
	v_add_f32_e32 v39, v15, v23
	v_sub_f32_e32 v3, v9, v3
	v_sub_f32_e32 v9, v74, v17
	;; [unrolled: 1-line block ×3, first 2 shown]
	v_fma_f32 v39, -0.5, v39, v76
	v_sub_f32_e32 v27, v46, v43
	v_fmamk_f32 v41, v17, 0x3f737871, v39
	v_fmac_f32_e32 v39, 0xbf737871, v17
	v_fmac_f32_e32 v41, 0x3f167918, v27
	;; [unrolled: 1-line block ×5, first 2 shown]
	v_add_f32_e32 v31, v76, v6
	v_add_f32_e32 v31, v31, v15
	;; [unrolled: 1-line block ×3, first 2 shown]
	v_sub_f32_e32 v6, v15, v6
	v_add_f32_e32 v15, v31, v23
	v_fmac_f32_e32 v76, -0.5, v43
	v_add_f32_e32 v15, v15, v0
	v_sub_f32_e32 v0, v23, v0
	v_add_f32_e32 v0, v6, v0
	v_fmamk_f32 v6, v27, 0xbf737871, v76
	v_fmac_f32_e32 v76, 0x3f737871, v27
	v_fmac_f32_e32 v6, 0x3f167918, v17
	;; [unrolled: 1-line block ×5, first 2 shown]
	v_add_f32_e32 v0, v82, v42
	v_add_f32_e32 v0, v0, v2
	v_mul_f32_e32 v2, 0x3f4f1bbd, v57
	v_mul_f32_e32 v17, 0x3e9e377a, v83
	v_mul_f32_e32 v5, 0xbe9e377a, v5
	v_mul_f32_e32 v23, 0xbf4f1bbd, v51
	v_sub_f32_e32 v1, v85, v50
	v_add_f32_e32 v0, v0, v30
	v_fmac_f32_e32 v2, 0x3f167918, v49
	v_fmac_f32_e32 v17, 0x3f737871, v79
	;; [unrolled: 1-line block ×4, first 2 shown]
	v_sub_f32_e32 v7, v81, v7
	v_add_f32_e32 v27, v15, v0
	v_sub_f32_e32 v0, v15, v0
	v_add_f32_e32 v15, v41, v2
	;; [unrolled: 2-line block ×5, first 2 shown]
	v_sub_f32_e32 v23, v39, v23
	ds_write2_b32 v38, v1, v3 offset0:88 offset1:188
	ds_write2_b32 v44, v9, v7 offset0:32 offset1:132
	ds_write2_b32 v34, v27, v15 offset1:100
	ds_write2_b32 v84, v30, v17 offset0:72 offset1:172
	ds_write2_b32 v52, v31, v0 offset0:144 offset1:244
	;; [unrolled: 1-line block ×4, first 2 shown]
	s_waitcnt lgkmcnt(0)
	s_barrier
	s_and_saveexec_b64 s[0:1], vcc
	s_cbranch_execz .LBB0_15
; %bb.14:
	v_mul_i32_i24_e32 v34, 3, v91
	v_lshl_add_u64 v[0:1], v[34:35], 3, s[4:5]
	v_mul_i32_i24_e32 v34, 3, v92
	v_lshl_add_u64 v[6:7], v[34:35], 3, s[4:5]
	v_mul_i32_i24_e32 v34, 3, v89
	v_lshl_add_u64 v[38:39], v[34:35], 3, s[4:5]
	v_mul_i32_i24_e32 v34, 3, v90
	v_mul_u32_u24_e32 v2, 3, v88
	v_lshl_add_u64 v[56:57], v[34:35], 3, s[4:5]
	v_lshlrev_b32_e32 v34, 3, v2
	s_mov_b64 s[0:1], 0x1ef0
	s_movk_i32 s2, 0x1000
	v_lshl_add_u64 v[2:3], s[4:5], 0, v[34:35]
	v_lshl_add_u64 v[30:31], v[2:3], 0, s[0:1]
	v_add_co_u32_e32 v2, vcc, s2, v2
	v_lshl_add_u64 v[60:61], v[38:39], 0, s[0:1]
	s_nop 0
	v_addc_co_u32_e32 v3, vcc, 0, v3, vcc
	global_load_dwordx2 v[70:71], v[30:31], off offset:16
	global_load_dwordx4 v[46:49], v[2:3], off offset:3824
	v_add_co_u32_e32 v42, vcc, 0x1000, v0
	ds_read2_b32 v[68:69], v68 offset0:40 offset1:240
	s_nop 0
	v_addc_co_u32_e32 v43, vcc, 0, v1, vcc
	v_add_co_u32_e32 v50, vcc, s2, v6
	v_lshl_add_u64 v[30:31], v[0:1], 0, s[0:1]
	s_nop 0
	v_addc_co_u32_e32 v51, vcc, 0, v7, vcc
	v_add_co_u32_e32 v38, vcc, s2, v38
	global_load_dwordx4 v[0:3], v[42:43], off offset:3824
	global_load_dwordx2 v[34:35], v[30:31], off offset:16
	v_lshl_add_u64 v[42:43], v[6:7], 0, s[0:1]
	v_addc_co_u32_e32 v39, vcc, 0, v39, vcc
	v_mul_i32_i24_e32 v15, 0xffffffdc, v90
	ds_read2_b32 v[30:31], v67 offset0:8 offset1:208
	ds_read_b32 v17, v4
	global_load_dwordx4 v[4:7], v[50:51], off offset:3824
	global_load_dwordx2 v[44:45], v[42:43], off offset:16
	ds_read2_b32 v[42:43], v65 offset0:24 offset1:224
	ds_read2_b32 v[66:67], v66 offset0:8 offset1:208
	ds_read_b32 v9, v63
	ds_read_b32 v23, v62
	ds_read2_b32 v[64:65], v64 offset0:24 offset1:224
	global_load_dwordx4 v[50:53], v[38:39], off offset:3824
	global_load_dwordx2 v[72:73], v[60:61], off offset:16
	v_lshl_add_u64 v[38:39], v[56:57], 0, s[0:1]
	v_add_co_u32_e32 v56, vcc, s2, v56
	v_add_u32_e32 v15, v59, v15
	s_nop 0
	v_addc_co_u32_e32 v57, vcc, 0, v57, vcc
	ds_read_b32 v27, v15
	global_load_dwordx4 v[60:63], v[56:57], off offset:3824
	global_load_dwordx2 v[74:75], v[38:39], off offset:16
	ds_read2_b32 v[56:57], v55 offset0:40 offset1:240
	ds_read2_b32 v[58:59], v58 offset0:24 offset1:224
	ds_read_b32 v38, v54 offset:15200
	ds_read_b32 v41, v54
	v_mad_u64_u32 v[54:55], s[0:1], s8, v88, 0
	v_mov_b32_e32 v76, v55
	v_mad_u64_u32 v[76:77], s[0:1], s9, v88, v[76:77]
	v_add_u32_e32 v15, 0x3e8, v88
	v_mov_b32_e32 v55, v76
	v_mad_u64_u32 v[76:77], s[0:1], s8, v15, 0
	v_mov_b32_e32 v78, v77
	v_mad_u64_u32 v[78:79], s[0:1], s9, v15, v[78:79]
	v_add_u32_e32 v15, 0x7d0, v88
	v_mov_b32_e32 v77, v78
	;; [unrolled: 5-line block ×3, first 2 shown]
	v_mad_u64_u32 v[80:81], s[2:3], s8, v15, 0
	v_mov_b32_e32 v82, v81
	v_mad_u64_u32 v[82:83], s[2:3], s9, v15, v[82:83]
	v_mov_b32_e32 v86, v28
	v_mov_b32_e32 v87, v11
	;; [unrolled: 1-line block ×3, first 2 shown]
	s_waitcnt lgkmcnt(2)
	v_mov_b32_e32 v82, v58
	v_mov_b32_e32 v83, v31
	v_lshl_add_u64 v[54:55], v[54:55], 3, v[32:33]
	v_lshl_add_u64 v[76:77], v[76:77], 3, v[32:33]
	v_add_u32_e32 v11, 0xc8, v88
	v_lshl_add_u64 v[78:79], v[78:79], 3, v[32:33]
	v_lshl_add_u64 v[80:81], v[80:81], 3, v[32:33]
	v_mov_b32_e32 v58, v59
	v_mov_b32_e32 v59, v64
	s_mov_b32 s1, 0x10624dd3
	s_movk_i32 s0, 0xbb8
	v_mov_b32_e32 v64, v66
	v_mov_b32_e32 v39, v69
	s_waitcnt vmcnt(9)
	v_mov_b32_e32 v84, v70
	s_waitcnt vmcnt(8)
	v_mov_b32_e32 v85, v48
	v_mov_b32_e32 v48, v71
	v_pk_mul_f32 v[70:71], v[86:87], v[48:49]
	s_nop 0
	v_pk_fma_f32 v[70:71], v[82:83], v[84:85], v[70:71] neg_lo:[0,0,1] neg_hi:[0,0,1]
	v_pk_mul_f32 v[84:85], v[86:87], v[84:85]
	s_nop 0
	v_pk_fma_f32 v[48:49], v[82:83], v[48:49], v[84:85]
	v_pk_mul_f32 v[82:83], v[56:57], v[46:47] op_sel_hi:[0,1]
	v_pk_fma_f32 v[84:85], v[36:37], v[46:47], v[82:83] op_sel:[0,0,1] op_sel_hi:[1,1,0]
	v_pk_fma_f32 v[46:47], v[36:37], v[46:47], v[82:83] op_sel:[0,0,1] op_sel_hi:[0,1,0] neg_lo:[1,0,0] neg_hi:[1,0,0]
	v_mov_b32_e32 v85, v47
	v_mov_b32_e32 v46, v47
	s_waitcnt lgkmcnt(0)
	v_mov_b32_e32 v47, v41
	v_pk_add_f32 v[46:47], v[46:47], v[70:71] neg_lo:[0,1] neg_hi:[0,1]
	v_mov_b32_e32 v70, v84
	v_mov_b32_e32 v71, v40
	v_pk_add_f32 v[48:49], v[70:71], v[48:49] neg_lo:[0,1] neg_hi:[0,1]
	s_nop 0
	v_pk_add_f32 v[70:71], v[46:47], v[48:49] op_sel:[0,1] op_sel_hi:[1,0]
	v_pk_add_f32 v[82:83], v[46:47], v[48:49] op_sel:[0,1] op_sel_hi:[1,0] neg_lo:[0,1] neg_hi:[0,1]
	s_nop 0
	v_mov_b32_e32 v71, v83
	v_mov_b32_e32 v82, v49
	;; [unrolled: 1-line block ×4, first 2 shown]
	v_pk_fma_f32 v[40:41], v[40:41], 2.0, v[82:83] op_sel_hi:[1,0,1] neg_lo:[0,0,1] neg_hi:[0,0,1]
	v_pk_fma_f32 v[46:47], v[84:85], 2.0, v[48:49] op_sel_hi:[1,0,1] neg_lo:[0,0,1] neg_hi:[0,0,1]
	s_nop 0
	v_pk_add_f32 v[46:47], v[40:41], v[46:47] neg_lo:[0,1] neg_hi:[0,1]
	s_nop 0
	v_pk_fma_f32 v[40:41], v[40:41], 2.0, v[46:47] op_sel_hi:[1,0,1] neg_lo:[0,0,1] neg_hi:[0,0,1]
	global_store_dwordx2 v[54:55], v[40:41], off
	v_pk_fma_f32 v[40:41], v[82:83], 2.0, v[70:71] op_sel_hi:[1,0,1] neg_lo:[0,0,1] neg_hi:[0,0,1]
	global_store_dwordx2 v[76:77], v[40:41], off
	global_store_dwordx2 v[78:79], v[46:47], off
	;; [unrolled: 1-line block ×3, first 2 shown]
	v_mad_u64_u32 v[40:41], s[2:3], s8, v11, 0
	v_mov_b32_e32 v28, v41
	v_mad_u64_u32 v[46:47], s[2:3], s9, v11, v[28:29]
	v_add_u32_e32 v11, 0x4b0, v88
	v_mov_b32_e32 v41, v46
	v_mad_u64_u32 v[46:47], s[2:3], s8, v11, 0
	v_mov_b32_e32 v28, v47
	v_mad_u64_u32 v[48:49], s[2:3], s9, v11, v[28:29]
	v_add_u32_e32 v11, 0x898, v88
	v_mov_b32_e32 v47, v48
	;; [unrolled: 5-line block ×3, first 2 shown]
	v_mad_u64_u32 v[54:55], s[2:3], s8, v11, 0
	v_mov_b32_e32 v28, v55
	v_mad_u64_u32 v[70:71], s[2:3], s9, v11, v[28:29]
	v_mov_b32_e32 v55, v70
	s_waitcnt vmcnt(4)
	v_mov_b32_e32 v70, v74
	v_mov_b32_e32 v71, v62
	;; [unrolled: 1-line block ×6, first 2 shown]
	v_pk_mul_f32 v[74:75], v[28:29], v[62:63]
	v_pk_mul_f32 v[28:29], v[28:29], v[70:71]
	v_pk_mul_f32 v[56:57], v[24:25], v[60:61] op_sel_hi:[0,1]
	v_mov_b32_e32 v24, v37
	v_pk_fma_f32 v[74:75], v[58:59], v[70:71], v[74:75] neg_lo:[0,0,1] neg_hi:[0,0,1]
	v_pk_fma_f32 v[28:29], v[58:59], v[62:63], v[28:29]
	v_pk_fma_f32 v[58:59], v[24:25], v[60:61], v[56:57] op_sel:[0,0,1] op_sel_hi:[1,1,0]
	v_pk_fma_f32 v[36:37], v[24:25], v[60:61], v[56:57] op_sel:[0,0,1] op_sel_hi:[0,1,0] neg_lo:[1,0,0] neg_hi:[1,0,0]
	v_mov_b32_e32 v59, v37
	v_mov_b32_e32 v36, v37
	;; [unrolled: 1-line block ×5, first 2 shown]
	v_pk_add_f32 v[36:37], v[36:37], v[74:75] neg_lo:[0,1] neg_hi:[0,1]
	v_pk_add_f32 v[28:29], v[56:57], v[28:29] neg_lo:[0,1] neg_hi:[0,1]
	v_add_u32_e32 v11, 0x190, v88
	v_pk_add_f32 v[56:57], v[36:37], v[28:29] op_sel:[0,1] op_sel_hi:[1,0]
	v_pk_add_f32 v[60:61], v[36:37], v[28:29] op_sel:[0,1] op_sel_hi:[1,0] neg_lo:[0,1] neg_hi:[0,1]
	v_mul_hi_u32 v15, v11, s1
	v_mov_b32_e32 v57, v61
	v_mov_b32_e32 v60, v29
	;; [unrolled: 1-line block ×4, first 2 shown]
	v_pk_fma_f32 v[26:27], v[26:27], 2.0, v[60:61] op_sel_hi:[1,0,1] neg_lo:[0,0,1] neg_hi:[0,0,1]
	v_pk_fma_f32 v[28:29], v[58:59], 2.0, v[28:29] op_sel_hi:[1,0,1] neg_lo:[0,0,1] neg_hi:[0,0,1]
	v_lshl_add_u64 v[40:41], v[40:41], 3, v[32:33]
	v_pk_add_f32 v[28:29], v[26:27], v[28:29] neg_lo:[0,1] neg_hi:[0,1]
	v_lshrrev_b32_e32 v15, 6, v15
	v_pk_fma_f32 v[26:27], v[26:27], 2.0, v[28:29] op_sel_hi:[1,0,1] neg_lo:[0,0,1] neg_hi:[0,0,1]
	v_lshl_add_u64 v[46:47], v[46:47], 3, v[32:33]
	global_store_dwordx2 v[40:41], v[26:27], off
	v_pk_fma_f32 v[26:27], v[60:61], 2.0, v[56:57] op_sel_hi:[1,0,1] neg_lo:[0,0,1] neg_hi:[0,0,1]
	v_mad_u32_u24 v11, v15, s0, v11
	v_lshl_add_u64 v[48:49], v[48:49], 3, v[32:33]
	v_lshl_add_u64 v[54:55], v[54:55], 3, v[32:33]
	global_store_dwordx2 v[46:47], v[26:27], off
	global_store_dwordx2 v[48:49], v[28:29], off
	;; [unrolled: 1-line block ×3, first 2 shown]
	v_mad_u64_u32 v[26:27], s[2:3], s8, v11, 0
	v_mov_b32_e32 v24, v27
	v_mad_u64_u32 v[28:29], s[2:3], s9, v11, v[24:25]
	v_add_u32_e32 v15, 0x3e8, v11
	v_mov_b32_e32 v27, v28
	v_mad_u64_u32 v[28:29], s[2:3], s8, v15, 0
	v_mov_b32_e32 v24, v29
	v_mad_u64_u32 v[36:37], s[2:3], s9, v15, v[24:25]
	v_add_u32_e32 v15, 0x7d0, v11
	v_mov_b32_e32 v29, v36
	;; [unrolled: 5-line block ×3, first 2 shown]
	v_mad_u64_u32 v[40:41], s[2:3], s8, v11, 0
	v_mov_b32_e32 v24, v41
	v_mad_u64_u32 v[46:47], s[2:3], s9, v11, v[24:25]
	v_mov_b32_e32 v47, v52
	v_mov_b32_e32 v24, v20
	;; [unrolled: 1-line block ×5, first 2 shown]
	v_pk_mul_f32 v[48:49], v[24:25], v[52:53]
	v_pk_mul_f32 v[24:25], v[24:25], v[46:47]
	v_pk_fma_f32 v[48:49], v[64:65], v[46:47], v[48:49] neg_lo:[0,0,1] neg_hi:[0,0,1]
	v_pk_mul_f32 v[46:47], v[42:43], v[50:51] op_sel_hi:[0,1]
	v_pk_fma_f32 v[24:25], v[64:65], v[52:53], v[24:25]
	v_pk_fma_f32 v[52:53], v[18:19], v[50:51], v[46:47] op_sel:[0,0,1] op_sel_hi:[1,1,0]
	v_pk_fma_f32 v[46:47], v[18:19], v[50:51], v[46:47] op_sel:[0,0,1] op_sel_hi:[0,1,0] neg_lo:[1,0,0] neg_hi:[1,0,0]
	v_mov_b32_e32 v53, v47
	v_mov_b32_e32 v46, v47
	;; [unrolled: 1-line block ×3, first 2 shown]
	v_pk_add_f32 v[46:47], v[46:47], v[48:49] neg_lo:[0,1] neg_hi:[0,1]
	v_mov_b32_e32 v48, v52
	v_mov_b32_e32 v49, v22
	v_pk_add_f32 v[24:25], v[48:49], v[24:25] neg_lo:[0,1] neg_hi:[0,1]
	v_add_u32_e32 v11, 0x258, v88
	v_pk_add_f32 v[48:49], v[46:47], v[24:25] op_sel:[0,1] op_sel_hi:[1,0]
	v_pk_add_f32 v[50:51], v[46:47], v[24:25] op_sel:[0,1] op_sel_hi:[1,0] neg_lo:[0,1] neg_hi:[0,1]
	v_mul_hi_u32 v15, v11, s1
	v_mov_b32_e32 v49, v51
	v_mov_b32_e32 v50, v25
	;; [unrolled: 1-line block ×4, first 2 shown]
	v_pk_fma_f32 v[22:23], v[22:23], 2.0, v[50:51] op_sel_hi:[1,0,1] neg_lo:[0,0,1] neg_hi:[0,0,1]
	v_pk_fma_f32 v[24:25], v[52:53], 2.0, v[24:25] op_sel_hi:[1,0,1] neg_lo:[0,0,1] neg_hi:[0,0,1]
	v_lshl_add_u64 v[26:27], v[26:27], 3, v[32:33]
	v_pk_add_f32 v[24:25], v[22:23], v[24:25] neg_lo:[0,1] neg_hi:[0,1]
	v_lshrrev_b32_e32 v15, 6, v15
	v_pk_fma_f32 v[22:23], v[22:23], 2.0, v[24:25] op_sel_hi:[1,0,1] neg_lo:[0,0,1] neg_hi:[0,0,1]
	v_lshl_add_u64 v[28:29], v[28:29], 3, v[32:33]
	global_store_dwordx2 v[26:27], v[22:23], off
	v_pk_fma_f32 v[22:23], v[50:51], 2.0, v[48:49] op_sel_hi:[1,0,1] neg_lo:[0,0,1] neg_hi:[0,0,1]
	v_mad_u32_u24 v11, v15, s0, v11
	v_lshl_add_u64 v[36:37], v[36:37], 3, v[32:33]
	v_lshl_add_u64 v[40:41], v[40:41], 3, v[32:33]
	global_store_dwordx2 v[28:29], v[22:23], off
	global_store_dwordx2 v[36:37], v[24:25], off
	;; [unrolled: 1-line block ×3, first 2 shown]
	v_mad_u64_u32 v[22:23], s[2:3], s8, v11, 0
	v_mov_b32_e32 v18, v23
	v_mad_u64_u32 v[24:25], s[2:3], s9, v11, v[18:19]
	v_add_u32_e32 v15, 0x3e8, v11
	v_mov_b32_e32 v23, v24
	v_mad_u64_u32 v[24:25], s[2:3], s8, v15, 0
	v_mov_b32_e32 v18, v25
	v_mad_u64_u32 v[26:27], s[2:3], s9, v15, v[18:19]
	v_add_u32_e32 v15, 0x7d0, v11
	v_mov_b32_e32 v25, v26
	;; [unrolled: 5-line block ×3, first 2 shown]
	v_mad_u64_u32 v[28:29], s[2:3], s8, v11, 0
	v_mov_b32_e32 v18, v29
	v_mad_u64_u32 v[36:37], s[2:3], s9, v11, v[18:19]
	v_mov_b32_e32 v40, v44
	v_mov_b32_e32 v41, v6
	;; [unrolled: 1-line block ×8, first 2 shown]
	v_pk_mul_f32 v[44:45], v[20:21], v[6:7]
	v_pk_mul_f32 v[20:21], v[20:21], v[40:41]
	v_mov_b32_e32 v12, v43
	v_pk_fma_f32 v[6:7], v[36:37], v[6:7], v[20:21]
	v_pk_mul_f32 v[20:21], v[12:13], v[4:5] op_sel_hi:[0,1]
	v_mov_b32_e32 v12, v19
	v_pk_fma_f32 v[44:45], v[36:37], v[40:41], v[44:45] neg_lo:[0,0,1] neg_hi:[0,0,1]
	v_pk_fma_f32 v[36:37], v[12:13], v[4:5], v[20:21] op_sel:[0,0,1] op_sel_hi:[1,1,0]
	v_pk_fma_f32 v[4:5], v[12:13], v[4:5], v[20:21] op_sel:[0,0,1] op_sel_hi:[0,1,0] neg_lo:[1,0,0] neg_hi:[1,0,0]
	v_mov_b32_e32 v37, v5
	v_mov_b32_e32 v4, v5
	;; [unrolled: 1-line block ×5, first 2 shown]
	v_pk_add_f32 v[4:5], v[4:5], v[44:45] neg_lo:[0,1] neg_hi:[0,1]
	v_pk_add_f32 v[6:7], v[18:19], v[6:7] neg_lo:[0,1] neg_hi:[0,1]
	v_lshl_add_u64 v[22:23], v[22:23], 3, v[32:33]
	v_pk_add_f32 v[18:19], v[4:5], v[6:7] op_sel:[0,1] op_sel_hi:[1,0]
	v_pk_add_f32 v[20:21], v[4:5], v[6:7] op_sel:[0,1] op_sel_hi:[1,0] neg_lo:[0,1] neg_hi:[0,1]
	v_lshl_add_u64 v[24:25], v[24:25], 3, v[32:33]
	v_mov_b32_e32 v19, v21
	v_mov_b32_e32 v20, v7
	v_mov_b32_e32 v21, v5
	v_mov_b32_e32 v7, v4
	v_pk_fma_f32 v[16:17], v[16:17], 2.0, v[20:21] op_sel_hi:[1,0,1] neg_lo:[0,0,1] neg_hi:[0,0,1]
	v_pk_fma_f32 v[4:5], v[36:37], 2.0, v[6:7] op_sel_hi:[1,0,1] neg_lo:[0,0,1] neg_hi:[0,0,1]
	v_lshl_add_u64 v[26:27], v[26:27], 3, v[32:33]
	v_pk_add_f32 v[4:5], v[16:17], v[4:5] neg_lo:[0,1] neg_hi:[0,1]
	v_lshl_add_u64 v[28:29], v[28:29], 3, v[32:33]
	v_pk_fma_f32 v[6:7], v[16:17], 2.0, v[4:5] op_sel_hi:[1,0,1] neg_lo:[0,0,1] neg_hi:[0,0,1]
	global_store_dwordx2 v[22:23], v[6:7], off
	v_pk_fma_f32 v[6:7], v[20:21], 2.0, v[18:19] op_sel_hi:[1,0,1] neg_lo:[0,0,1] neg_hi:[0,0,1]
	global_store_dwordx2 v[24:25], v[6:7], off
	global_store_dwordx2 v[26:27], v[4:5], off
	;; [unrolled: 1-line block ×3, first 2 shown]
	v_add_u32_e32 v4, 0x320, v88
	v_mul_hi_u32 v5, v4, s1
	v_lshrrev_b32_e32 v5, 6, v5
	v_mad_u32_u24 v11, v5, s0, v4
	v_mad_u64_u32 v[4:5], s[0:1], s8, v11, 0
	v_mov_b32_e32 v6, v5
	v_mad_u64_u32 v[6:7], s[0:1], s9, v11, v[6:7]
	v_add_u32_e32 v15, 0x3e8, v11
	v_mov_b32_e32 v5, v6
	v_mad_u64_u32 v[6:7], s[0:1], s8, v15, 0
	v_mov_b32_e32 v12, v7
	v_mad_u64_u32 v[16:17], s[0:1], s9, v15, v[12:13]
	v_add_u32_e32 v15, 0x7d0, v11
	v_mov_b32_e32 v7, v16
	;; [unrolled: 5-line block ×3, first 2 shown]
	v_mad_u64_u32 v[18:19], s[0:1], s8, v11, 0
	v_mov_b32_e32 v12, v19
	v_mad_u64_u32 v[20:21], s[0:1], s9, v11, v[12:13]
	v_mov_b32_e32 v19, v20
	v_mov_b32_e32 v20, v34
	v_mov_b32_e32 v21, v2
	v_mov_b32_e32 v15, v13
	v_mov_b32_e32 v2, v35
	v_pk_mul_f32 v[12:13], v[14:15], v[2:3]
	v_pk_mul_f32 v[14:15], v[14:15], v[20:21]
	v_pk_fma_f32 v[12:13], v[38:39], v[20:21], v[12:13] neg_lo:[0,0,1] neg_hi:[0,0,1]
	v_pk_fma_f32 v[2:3], v[38:39], v[2:3], v[14:15]
	v_pk_mul_f32 v[14:15], v[30:31], v[0:1] op_sel_hi:[0,1]
	v_pk_fma_f32 v[20:21], v[10:11], v[0:1], v[14:15] op_sel:[0,0,1] op_sel_hi:[1,1,0]
	v_pk_fma_f32 v[0:1], v[10:11], v[0:1], v[14:15] op_sel:[0,0,1] op_sel_hi:[0,1,0] neg_lo:[1,0,0] neg_hi:[1,0,0]
	v_mov_b32_e32 v21, v1
	v_mov_b32_e32 v0, v1
	;; [unrolled: 1-line block ×5, first 2 shown]
	v_pk_add_f32 v[0:1], v[0:1], v[12:13] neg_lo:[0,1] neg_hi:[0,1]
	v_pk_add_f32 v[2:3], v[10:11], v[2:3] neg_lo:[0,1] neg_hi:[0,1]
	v_lshl_add_u64 v[4:5], v[4:5], 3, v[32:33]
	v_pk_add_f32 v[10:11], v[0:1], v[2:3] op_sel:[0,1] op_sel_hi:[1,0]
	v_pk_add_f32 v[12:13], v[0:1], v[2:3] op_sel:[0,1] op_sel_hi:[1,0] neg_lo:[0,1] neg_hi:[0,1]
	v_lshl_add_u64 v[6:7], v[6:7], 3, v[32:33]
	v_mov_b32_e32 v11, v13
	v_mov_b32_e32 v12, v3
	;; [unrolled: 1-line block ×4, first 2 shown]
	v_pk_fma_f32 v[8:9], v[8:9], 2.0, v[12:13] op_sel_hi:[1,0,1] neg_lo:[0,0,1] neg_hi:[0,0,1]
	v_pk_fma_f32 v[0:1], v[20:21], 2.0, v[2:3] op_sel_hi:[1,0,1] neg_lo:[0,0,1] neg_hi:[0,0,1]
	v_lshl_add_u64 v[16:17], v[16:17], 3, v[32:33]
	v_pk_add_f32 v[0:1], v[8:9], v[0:1] neg_lo:[0,1] neg_hi:[0,1]
	v_lshl_add_u64 v[18:19], v[18:19], 3, v[32:33]
	v_pk_fma_f32 v[2:3], v[8:9], 2.0, v[0:1] op_sel_hi:[1,0,1] neg_lo:[0,0,1] neg_hi:[0,0,1]
	global_store_dwordx2 v[4:5], v[2:3], off
	v_pk_fma_f32 v[2:3], v[12:13], 2.0, v[10:11] op_sel_hi:[1,0,1] neg_lo:[0,0,1] neg_hi:[0,0,1]
	global_store_dwordx2 v[6:7], v[2:3], off
	global_store_dwordx2 v[16:17], v[0:1], off
	;; [unrolled: 1-line block ×3, first 2 shown]
.LBB0_15:
	s_endpgm
	.section	.rodata,"a",@progbits
	.p2align	6, 0x0
	.amdhsa_kernel fft_rtc_back_len4000_factors_10_10_10_4_wgs_200_tpt_200_halfLds_sp_ip_CI_sbrr_dirReg
		.amdhsa_group_segment_fixed_size 0
		.amdhsa_private_segment_fixed_size 0
		.amdhsa_kernarg_size 88
		.amdhsa_user_sgpr_count 2
		.amdhsa_user_sgpr_dispatch_ptr 0
		.amdhsa_user_sgpr_queue_ptr 0
		.amdhsa_user_sgpr_kernarg_segment_ptr 1
		.amdhsa_user_sgpr_dispatch_id 0
		.amdhsa_user_sgpr_kernarg_preload_length 0
		.amdhsa_user_sgpr_kernarg_preload_offset 0
		.amdhsa_user_sgpr_private_segment_size 0
		.amdhsa_uses_dynamic_stack 0
		.amdhsa_enable_private_segment 0
		.amdhsa_system_sgpr_workgroup_id_x 1
		.amdhsa_system_sgpr_workgroup_id_y 0
		.amdhsa_system_sgpr_workgroup_id_z 0
		.amdhsa_system_sgpr_workgroup_info 0
		.amdhsa_system_vgpr_workitem_id 0
		.amdhsa_next_free_vgpr 108
		.amdhsa_next_free_sgpr 24
		.amdhsa_accum_offset 108
		.amdhsa_reserve_vcc 1
		.amdhsa_float_round_mode_32 0
		.amdhsa_float_round_mode_16_64 0
		.amdhsa_float_denorm_mode_32 3
		.amdhsa_float_denorm_mode_16_64 3
		.amdhsa_dx10_clamp 1
		.amdhsa_ieee_mode 1
		.amdhsa_fp16_overflow 0
		.amdhsa_tg_split 0
		.amdhsa_exception_fp_ieee_invalid_op 0
		.amdhsa_exception_fp_denorm_src 0
		.amdhsa_exception_fp_ieee_div_zero 0
		.amdhsa_exception_fp_ieee_overflow 0
		.amdhsa_exception_fp_ieee_underflow 0
		.amdhsa_exception_fp_ieee_inexact 0
		.amdhsa_exception_int_div_zero 0
	.end_amdhsa_kernel
	.text
.Lfunc_end0:
	.size	fft_rtc_back_len4000_factors_10_10_10_4_wgs_200_tpt_200_halfLds_sp_ip_CI_sbrr_dirReg, .Lfunc_end0-fft_rtc_back_len4000_factors_10_10_10_4_wgs_200_tpt_200_halfLds_sp_ip_CI_sbrr_dirReg
                                        ; -- End function
	.section	.AMDGPU.csdata,"",@progbits
; Kernel info:
; codeLenInByte = 12996
; NumSgprs: 30
; NumVgprs: 108
; NumAgprs: 0
; TotalNumVgprs: 108
; ScratchSize: 0
; MemoryBound: 0
; FloatMode: 240
; IeeeMode: 1
; LDSByteSize: 0 bytes/workgroup (compile time only)
; SGPRBlocks: 3
; VGPRBlocks: 13
; NumSGPRsForWavesPerEU: 30
; NumVGPRsForWavesPerEU: 108
; AccumOffset: 108
; Occupancy: 4
; WaveLimiterHint : 1
; COMPUTE_PGM_RSRC2:SCRATCH_EN: 0
; COMPUTE_PGM_RSRC2:USER_SGPR: 2
; COMPUTE_PGM_RSRC2:TRAP_HANDLER: 0
; COMPUTE_PGM_RSRC2:TGID_X_EN: 1
; COMPUTE_PGM_RSRC2:TGID_Y_EN: 0
; COMPUTE_PGM_RSRC2:TGID_Z_EN: 0
; COMPUTE_PGM_RSRC2:TIDIG_COMP_CNT: 0
; COMPUTE_PGM_RSRC3_GFX90A:ACCUM_OFFSET: 26
; COMPUTE_PGM_RSRC3_GFX90A:TG_SPLIT: 0
	.text
	.p2alignl 6, 3212836864
	.fill 256, 4, 3212836864
	.type	__hip_cuid_d5b9f0a21a2ee248,@object ; @__hip_cuid_d5b9f0a21a2ee248
	.section	.bss,"aw",@nobits
	.globl	__hip_cuid_d5b9f0a21a2ee248
__hip_cuid_d5b9f0a21a2ee248:
	.byte	0                               ; 0x0
	.size	__hip_cuid_d5b9f0a21a2ee248, 1

	.ident	"AMD clang version 19.0.0git (https://github.com/RadeonOpenCompute/llvm-project roc-6.4.0 25133 c7fe45cf4b819c5991fe208aaa96edf142730f1d)"
	.section	".note.GNU-stack","",@progbits
	.addrsig
	.addrsig_sym __hip_cuid_d5b9f0a21a2ee248
	.amdgpu_metadata
---
amdhsa.kernels:
  - .agpr_count:     0
    .args:
      - .actual_access:  read_only
        .address_space:  global
        .offset:         0
        .size:           8
        .value_kind:     global_buffer
      - .offset:         8
        .size:           8
        .value_kind:     by_value
      - .actual_access:  read_only
        .address_space:  global
        .offset:         16
        .size:           8
        .value_kind:     global_buffer
      - .actual_access:  read_only
        .address_space:  global
        .offset:         24
        .size:           8
        .value_kind:     global_buffer
      - .offset:         32
        .size:           8
        .value_kind:     by_value
      - .actual_access:  read_only
        .address_space:  global
        .offset:         40
        .size:           8
        .value_kind:     global_buffer
      - .actual_access:  read_only
        .address_space:  global
        .offset:         48
        .size:           8
        .value_kind:     global_buffer
      - .offset:         56
        .size:           4
        .value_kind:     by_value
      - .actual_access:  read_only
        .address_space:  global
        .offset:         64
        .size:           8
        .value_kind:     global_buffer
      - .actual_access:  read_only
        .address_space:  global
        .offset:         72
        .size:           8
        .value_kind:     global_buffer
      - .address_space:  global
        .offset:         80
        .size:           8
        .value_kind:     global_buffer
    .group_segment_fixed_size: 0
    .kernarg_segment_align: 8
    .kernarg_segment_size: 88
    .language:       OpenCL C
    .language_version:
      - 2
      - 0
    .max_flat_workgroup_size: 200
    .name:           fft_rtc_back_len4000_factors_10_10_10_4_wgs_200_tpt_200_halfLds_sp_ip_CI_sbrr_dirReg
    .private_segment_fixed_size: 0
    .sgpr_count:     30
    .sgpr_spill_count: 0
    .symbol:         fft_rtc_back_len4000_factors_10_10_10_4_wgs_200_tpt_200_halfLds_sp_ip_CI_sbrr_dirReg.kd
    .uniform_work_group_size: 1
    .uses_dynamic_stack: false
    .vgpr_count:     108
    .vgpr_spill_count: 0
    .wavefront_size: 64
amdhsa.target:   amdgcn-amd-amdhsa--gfx950
amdhsa.version:
  - 1
  - 2
...

	.end_amdgpu_metadata
